;; amdgpu-corpus repo=ROCm/aiter kind=compiled arch=gfx90a opt=O3
	.text
	.amdgcn_target "amdgcn-amd-amdhsa--gfx90a"
	.amdhsa_code_object_version 6
	.section	.text._ZN4vllm15rms_norm_kernelIfEEvPT_PKS1_S4_fii,"axG",@progbits,_ZN4vllm15rms_norm_kernelIfEEvPT_PKS1_S4_fii,comdat
	.protected	_ZN4vllm15rms_norm_kernelIfEEvPT_PKS1_S4_fii ; -- Begin function _ZN4vllm15rms_norm_kernelIfEEvPT_PKS1_S4_fii
	.globl	_ZN4vllm15rms_norm_kernelIfEEvPT_PKS1_S4_fii
	.p2align	8
	.type	_ZN4vllm15rms_norm_kernelIfEEvPT_PKS1_S4_fii,@function
_ZN4vllm15rms_norm_kernelIfEEvPT_PKS1_S4_fii: ; @_ZN4vllm15rms_norm_kernelIfEEvPT_PKS1_S4_fii
; %bb.0:
	s_load_dword s8, s[4:5], 0x20
	s_load_dwordx2 s[20:21], s[4:5], 0x8
                                        ; implicit-def: $sgpr10
                                        ; implicit-def: $sgpr7
                                        ; implicit-def: $sgpr9
	s_waitcnt lgkmcnt(0)
	s_ashr_i32 s28, s8, 3
	v_cmp_gt_i32_e64 s[0:1], s28, v0
	v_cmp_le_i32_e32 vcc, s28, v0
	s_and_saveexec_b64 s[2:3], vcc
	s_xor_b64 s[2:3], exec, s[2:3]
	s_cbranch_execz .LBB0_2
; %bb.1:
	s_load_dword s7, s[4:5], 0x34
	s_mov_b32 s10, 0
	s_waitcnt lgkmcnt(0)
	s_and_b32 s9, s7, 0xffff
.LBB0_2:
	s_or_saveexec_b64 s[2:3], s[2:3]
	s_load_dwordx2 s[22:23], s[4:5], 0x0
	s_load_dwordx2 s[24:25], s[4:5], 0x10
	v_mov_b32_e32 v3, s10
	v_mov_b32_e32 v1, s7
	;; [unrolled: 1-line block ×3, first 2 shown]
	s_mul_i32 s29, s28, s6
	s_xor_b64 exec, exec, s[2:3]
	s_cbranch_execz .LBB0_6
; %bb.3:
	s_load_dword s9, s[4:5], 0x34
	v_mov_b32_e32 v2, 0
	s_mov_b64 s[6:7], 0
	v_mov_b32_e32 v5, 0
	v_mov_b32_e32 v1, s21
	s_waitcnt lgkmcnt(0)
	s_and_b32 s10, s9, 0xffff
	v_mov_b32_e32 v12, v0
	v_mov_b32_e32 v3, v2
	;; [unrolled: 1-line block ×8, first 2 shown]
.LBB0_4:                                ; =>This Inner Loop Header: Depth=1
	v_add_u32_e32 v4, s29, v12
	v_lshlrev_b64 v[14:15], 5, v[4:5]
	v_add_co_u32_e32 v22, vcc, s20, v14
	v_addc_co_u32_e32 v23, vcc, v1, v15, vcc
	global_load_dwordx4 v[14:17], v[22:23], off
	global_load_dwordx4 v[18:21], v[22:23], off offset:16
	v_add_u32_e32 v12, s10, v12
	v_cmp_le_i32_e32 vcc, s28, v12
	s_or_b64 s[6:7], vcc, s[6:7]
	s_waitcnt vmcnt(1)
	v_pk_fma_f32 v[10:11], v[14:15], v[14:15], v[10:11]
	v_pk_fma_f32 v[8:9], v[16:17], v[16:17], v[8:9]
	s_waitcnt vmcnt(0)
	v_pk_fma_f32 v[6:7], v[18:19], v[18:19], v[6:7]
	v_pk_fma_f32 v[2:3], v[20:21], v[20:21], v[2:3]
	s_andn2_b64 exec, exec, s[6:7]
	s_cbranch_execnz .LBB0_4
; %bb.5:
	s_or_b64 exec, exec, s[6:7]
	v_add_f32_e32 v1, v10, v11
	v_add_f32_e32 v1, v1, v8
	;; [unrolled: 1-line block ×7, first 2 shown]
	v_mov_b32_e32 v1, s9
	v_mov_b32_e32 v34, s10
.LBB0_6:
	s_or_b64 exec, exec, s[2:3]
	v_mbcnt_lo_u32_b32 v2, -1, 0
	v_mbcnt_hi_u32_b32 v2, -1, v2
	v_and_b32_e32 v4, 63, v2
	v_cmp_ne_u32_e32 vcc, 63, v4
	v_addc_co_u32_e32 v5, vcc, 0, v2, vcc
	v_lshlrev_b32_e32 v5, 2, v5
	ds_bpermute_b32 v5, v5, v3
	v_and_b32_e32 v6, 0x3c0, v0
	v_sub_u32_e64 v6, v34, v6 clamp
	v_add_u32_e32 v7, 1, v2
	v_cmp_lt_u32_e32 vcc, v7, v6
	s_waitcnt lgkmcnt(0)
	v_add_f32_e32 v5, v3, v5
	v_cndmask_b32_e32 v3, v3, v5, vcc
	v_cmp_gt_u32_e32 vcc, 62, v4
	v_cndmask_b32_e64 v5, 0, 1, vcc
	v_lshlrev_b32_e32 v5, 1, v5
	v_add_lshl_u32 v5, v5, v2, 2
	ds_bpermute_b32 v5, v5, v3
	v_add_u32_e32 v7, 2, v2
	v_cmp_lt_u32_e32 vcc, v7, v6
	v_add_u32_e32 v7, 4, v2
	s_waitcnt lgkmcnt(0)
	v_add_f32_e32 v5, v3, v5
	v_cndmask_b32_e32 v3, v3, v5, vcc
	v_cmp_gt_u32_e32 vcc, 60, v4
	v_cndmask_b32_e64 v5, 0, 1, vcc
	v_lshlrev_b32_e32 v5, 2, v5
	v_add_lshl_u32 v5, v5, v2, 2
	ds_bpermute_b32 v5, v5, v3
	v_cmp_lt_u32_e32 vcc, v7, v6
	v_add_u32_e32 v7, 8, v2
	s_waitcnt lgkmcnt(0)
	v_add_f32_e32 v5, v3, v5
	v_cndmask_b32_e32 v3, v3, v5, vcc
	v_cmp_gt_u32_e32 vcc, 56, v4
	v_cndmask_b32_e64 v5, 0, 1, vcc
	v_lshlrev_b32_e32 v5, 3, v5
	v_add_lshl_u32 v5, v5, v2, 2
	ds_bpermute_b32 v5, v5, v3
	;; [unrolled: 10-line block ×3, first 2 shown]
	v_cmp_lt_u32_e32 vcc, v7, v6
	s_waitcnt lgkmcnt(0)
	v_add_f32_e32 v5, v3, v5
	v_cndmask_b32_e32 v3, v3, v5, vcc
	v_cmp_gt_u32_e32 vcc, 32, v4
	v_cndmask_b32_e64 v4, 0, 1, vcc
	v_lshlrev_b32_e32 v4, 5, v4
	v_add_lshl_u32 v4, v4, v2, 2
	ds_bpermute_b32 v4, v4, v3
	v_add_u32_e32 v5, 32, v2
	v_cmp_lt_u32_e32 vcc, v5, v6
	s_waitcnt lgkmcnt(0)
	v_add_f32_e32 v4, v3, v4
	v_cndmask_b32_e32 v3, v3, v4, vcc
	v_cmp_eq_u32_e32 vcc, 0, v2
	s_and_saveexec_b64 s[2:3], vcc
	s_cbranch_execz .LBB0_8
; %bb.7:
	v_lshrrev_b32_e32 v4, 4, v0
	v_and_b32_e32 v4, 60, v4
	ds_write_b32 v4, v3
.LBB0_8:
	s_or_b64 exec, exec, s[2:3]
	v_cmp_gt_u32_e32 vcc, 16, v0
	s_waitcnt lgkmcnt(0)
	s_barrier
	s_and_saveexec_b64 s[6:7], vcc
	s_cbranch_execz .LBB0_10
; %bb.9:
	v_lshlrev_b32_e32 v3, 2, v2
	ds_read_b32 v3, v3
	v_and_b32_e32 v4, 15, v2
	v_cmp_ne_u32_e32 vcc, 15, v4
	v_addc_co_u32_e32 v5, vcc, 0, v2, vcc
	v_lshlrev_b32_e32 v5, 2, v5
	s_waitcnt lgkmcnt(0)
	ds_bpermute_b32 v5, v5, v3
	v_add_u32_e32 v6, 63, v34
	v_lshrrev_b32_e32 v6, 6, v6
	v_add_u32_e32 v7, 1, v4
	v_cmp_gt_u32_e64 s[2:3], 14, v4
	v_cmp_lt_u32_e32 vcc, v7, v6
	v_cndmask_b32_e64 v7, 0, 1, s[2:3]
	s_waitcnt lgkmcnt(0)
	v_add_f32_e32 v5, v3, v5
	v_lshlrev_b32_e32 v7, 1, v7
	v_cndmask_b32_e32 v5, v3, v5, vcc
	v_add_lshl_u32 v7, v7, v2, 2
	ds_bpermute_b32 v7, v7, v5
	v_add_u32_e32 v8, 2, v4
	v_cmp_lt_u32_e64 s[2:3], v8, v6
	v_add_u32_e32 v8, 4, v4
	s_waitcnt lgkmcnt(0)
	v_add_f32_e32 v7, v5, v7
	v_cndmask_b32_e64 v5, v5, v7, s[2:3]
	v_cmp_gt_u32_e64 s[2:3], 12, v4
	v_cndmask_b32_e64 v7, 0, 1, s[2:3]
	v_lshlrev_b32_e32 v7, 2, v7
	v_add_lshl_u32 v7, v7, v2, 2
	ds_bpermute_b32 v7, v7, v5
	v_cmp_lt_u32_e64 s[2:3], v8, v6
	s_waitcnt lgkmcnt(0)
	v_add_f32_e32 v7, v5, v7
	v_cndmask_b32_e64 v5, v5, v7, s[2:3]
	v_cmp_gt_u32_e64 s[2:3], 8, v4
	v_cndmask_b32_e64 v7, 0, 1, s[2:3]
	v_lshlrev_b32_e32 v7, 3, v7
	v_add_lshl_u32 v2, v7, v2, 2
	ds_bpermute_b32 v2, v2, v5
	v_add_u32_e32 v4, 8, v4
	v_cmp_lt_u32_e64 s[2:3], v4, v6
	s_waitcnt lgkmcnt(0)
	v_add_f32_e32 v2, v5, v2
	v_cndmask_b32_e64 v2, v5, v2, s[2:3]
	v_cndmask_b32_e32 v3, v3, v2, vcc
.LBB0_10:
	s_or_b64 exec, exec, s[6:7]
	v_cmp_eq_u32_e32 vcc, 0, v0
	s_and_saveexec_b64 s[2:3], vcc
	s_cbranch_execz .LBB0_12
; %bb.11:
	v_cvt_f32_i32_e32 v2, s8
	s_load_dword s6, s[4:5], 0x18
	v_div_scale_f32 v4, s[4:5], v2, v2, v3
	v_rcp_f32_e32 v5, v4
	v_div_scale_f32 v6, vcc, v3, v2, v3
	s_mov_b32 s4, 0x800000
	v_fma_f32 v7, -v4, v5, 1.0
	v_fmac_f32_e32 v5, v7, v5
	v_mul_f32_e32 v7, v6, v5
	v_fma_f32 v8, -v4, v7, v6
	v_fmac_f32_e32 v7, v8, v5
	v_fma_f32 v4, -v4, v7, v6
	v_div_fmas_f32 v4, v4, v5, v7
	v_div_fixup_f32 v2, v4, v2, v3
	s_waitcnt lgkmcnt(0)
	v_add_f32_e32 v2, s6, v2
	v_mul_f32_e32 v3, 0x4b800000, v2
	v_cmp_gt_f32_e32 vcc, s4, v2
	v_cndmask_b32_e32 v2, v2, v3, vcc
	v_rsq_f32_e32 v2, v2
	v_mul_f32_e32 v3, 0x45800000, v2
	v_cndmask_b32_e32 v2, v2, v3, vcc
	v_mov_b32_e32 v3, 0
	ds_write_b32 v3, v2 offset:64
.LBB0_12:
	s_or_b64 exec, exec, s[2:3]
	s_waitcnt lgkmcnt(0)
	s_barrier
	s_and_saveexec_b64 s[2:3], s[0:1]
	s_cbranch_execz .LBB0_22
; %bb.13:
	v_cvt_f32_u32_e32 v2, v34
	v_add_u32_e32 v4, v0, v34
	v_sub_u32_e32 v5, 0, v34
	v_cmp_gt_i32_e64 s[0:1], s28, v4
	v_rcp_iflag_f32_e32 v2, v2
	v_max_i32_e32 v6, s28, v4
	v_addc_co_u32_e64 v4, vcc, v0, v34, s[0:1]
	v_mul_f32_e32 v2, 0x4f7ffffe, v2
	v_cvt_u32_f32_e32 v2, v2
	v_sub_u32_e32 v4, v6, v4
	v_mov_b32_e32 v3, 0
	ds_read_b32 v36, v3 offset:64
	v_mul_lo_u32 v5, v5, v2
	v_mul_hi_u32 v5, v2, v5
	v_add_u32_e32 v2, v2, v5
	v_mul_hi_u32 v2, v4, v2
	v_mul_lo_u32 v5, v2, v34
	v_sub_u32_e32 v4, v4, v5
	v_add_u32_e32 v5, 1, v2
	v_cmp_ge_u32_e32 vcc, v4, v34
	v_cndmask_b32_e32 v2, v2, v5, vcc
	v_sub_u32_e32 v5, v4, v34
	v_cndmask_b32_e32 v4, v4, v5, vcc
	v_add_u32_e32 v5, 1, v2
	v_cmp_ge_u32_e32 vcc, v4, v34
	v_cndmask_b32_e32 v2, v2, v5, vcc
	v_addc_co_u32_e64 v39, vcc, 1, v2, s[0:1]
	s_movk_i32 s2, 0x58
	v_cmp_gt_u32_e32 vcc, s2, v39
	s_movk_i32 s2, 0x57
	v_cmp_lt_u32_e64 s[2:3], s2, v39
	s_and_saveexec_b64 s[26:27], s[2:3]
	s_cbranch_execz .LBB0_19
; %bb.14:
	v_addc_co_u32_e64 v4, s[0:1], 0, v2, s[0:1]
	v_add_u32_e32 v2, s29, v0
	v_cmp_eq_u16_e64 s[0:1], 1, v1
	v_not_b32_e32 v1, v2
	v_lshlrev_b64 v[6:7], 5, v[2:3]
	v_cmp_le_u32_e64 s[2:3], v4, v1
	v_mov_b32_e32 v1, s23
	v_add_co_u32_e64 v6, s[4:5], s22, v6
	v_addc_co_u32_e64 v7, s[4:5], v1, v7, s[4:5]
	v_add_co_u32_e64 v8, s[4:5], 24, v6
	v_mov_b32_e32 v5, v3
	v_addc_co_u32_e64 v9, s[4:5], 0, v7, s[4:5]
	v_lshlrev_b64 v[2:3], 5, v[4:5]
	v_add_co_u32_e64 v2, s[4:5], v6, v2
	v_addc_co_u32_e64 v3, s[4:5], v7, v3, s[4:5]
	v_add_co_u32_e64 v4, s[4:5], 24, v2
	v_addc_co_u32_e64 v5, s[4:5], 0, v3, s[4:5]
	v_cmp_ge_u64_e64 s[4:5], v[4:5], v[8:9]
	v_add_co_u32_e64 v4, s[6:7], 28, v6
	v_addc_co_u32_e64 v5, s[6:7], 0, v7, s[6:7]
	v_add_co_u32_e64 v8, s[6:7], 28, v2
	v_addc_co_u32_e64 v9, s[6:7], 0, v3, s[6:7]
	v_cmp_ge_u64_e64 s[6:7], v[8:9], v[4:5]
	;; [unrolled: 5-line block ×5, first 2 shown]
	v_add_co_u32_e64 v4, s[14:15], 8, v6
	v_addc_co_u32_e64 v5, s[14:15], 0, v7, s[14:15]
	v_add_co_u32_e64 v8, s[14:15], 8, v2
	s_and_b64 s[0:1], s[0:1], s[2:3]
	v_addc_co_u32_e64 v9, s[14:15], 0, v3, s[14:15]
	s_and_b64 s[0:1], s[0:1], s[4:5]
	v_cmp_ge_u64_e64 s[14:15], v[8:9], v[4:5]
	v_add_co_u32_e64 v4, s[16:17], 4, v6
	s_and_b64 s[0:1], s[0:1], s[6:7]
	v_addc_co_u32_e64 v5, s[16:17], 0, v7, s[16:17]
	s_and_b64 s[0:1], s[0:1], s[8:9]
	v_add_co_u32_e64 v8, s[16:17], 4, v2
	s_and_b64 s[0:1], s[0:1], s[10:11]
	v_addc_co_u32_e64 v9, s[16:17], 0, v3, s[16:17]
	s_and_b64 s[0:1], s[0:1], s[12:13]
	v_cmp_ge_u64_e64 s[16:17], v[8:9], v[4:5]
	s_and_b64 s[0:1], s[0:1], s[14:15]
	v_cmp_ge_u64_e64 s[18:19], v[2:3], v[6:7]
	s_and_b64 s[0:1], s[0:1], s[16:17]
	s_and_b64 s[2:3], s[0:1], s[18:19]
	s_mov_b64 s[0:1], -1
	s_and_saveexec_b64 s[4:5], s[2:3]
	s_cbranch_execz .LBB0_18
; %bb.15:
	v_and_b32_e32 v48, -2, v39
	v_mad_u32_u24 v1, v34, 1, v0
	v_lshlrev_b32_e32 v38, 1, v34
	v_mov_b32_e32 v35, v38
	s_mov_b32 s8, s29
	s_waitcnt lgkmcnt(0)
	v_mov_b32_e32 v37, v36
	s_mov_b64 s[6:7], 0
	v_mov_b32_e32 v49, s21
	v_mov_b32_e32 v50, s25
	;; [unrolled: 1-line block ×5, first 2 shown]
	v_pk_mov_b32 v[42:43], v[0:1], v[0:1] op_sel:[0,1]
.LBB0_16:                               ; =>This Inner Loop Header: Depth=1
	v_add_u32_e32 v40, s29, v42
	v_lshlrev_b64 v[46:47], 5, v[40:41]
	v_add_u32_e32 v2, s8, v43
	v_mov_b32_e32 v3, v41
	v_add_co_u32_e64 v10, s[0:1], s20, v46
	v_lshlrev_b64 v[44:45], 5, v[2:3]
	v_addc_co_u32_e64 v11, s[0:1], v49, v47, s[0:1]
	v_mov_b32_e32 v40, v42
	v_add_co_u32_e64 v12, s[0:1], s20, v44
	v_addc_co_u32_e64 v13, s[0:1], v49, v45, s[0:1]
	v_lshlrev_b64 v[18:19], 5, v[40:41]
	v_mov_b32_e32 v40, v43
	v_add_co_u32_e64 v26, s[0:1], s24, v18
	v_addc_co_u32_e64 v27, s[0:1], v50, v19, s[0:1]
	v_lshlrev_b64 v[28:29], 5, v[40:41]
	v_add_co_u32_e64 v54, s[0:1], s24, v28
	global_load_dwordx4 v[22:25], v[10:11], off
	global_load_dwordx4 v[6:9], v[12:13], off
	global_load_dwordx4 v[14:17], v[10:11], off offset:16
	global_load_dwordx4 v[2:5], v[12:13], off offset:16
	v_addc_co_u32_e64 v55, s[0:1], v50, v29, s[0:1]
	global_load_dwordx4 v[18:21], v[26:27], off
	global_load_dwordx4 v[10:13], v[26:27], off offset:16
	global_load_dwordx4 v[30:33], v[54:55], off
	s_nop 0
	global_load_dwordx4 v[26:29], v[54:55], off offset:16
	v_add_u32_e32 v52, -2, v52
	v_add_co_u32_e64 v46, s[2:3], s22, v46
	v_cmp_eq_u32_e64 s[0:1], 0, v52
	v_addc_co_u32_e64 v47, s[2:3], v51, v47, s[2:3]
	v_add_u32_e32 v42, v42, v38
	v_add_co_u32_e64 v44, s[2:3], s22, v44
	v_add_u32_e32 v43, v43, v35
	s_or_b64 s[6:7], s[0:1], s[6:7]
	v_addc_co_u32_e64 v45, s[2:3], v51, v45, s[2:3]
	s_waitcnt vmcnt(7)
	v_mov_b32_e32 v54, v22
	s_waitcnt vmcnt(6)
	v_mov_b32_e32 v55, v6
	v_mov_b32_e32 v6, v23
	;; [unrolled: 1-line block ×5, first 2 shown]
	s_waitcnt vmcnt(5)
	v_mov_b32_e32 v24, v14
	s_waitcnt vmcnt(4)
	v_mov_b32_e32 v25, v2
	v_mov_b32_e32 v2, v15
	;; [unrolled: 1-line block ×5, first 2 shown]
	s_waitcnt vmcnt(3)
	v_mov_b32_e32 v16, v18
	v_mov_b32_e32 v18, v20
	v_pk_mul_f32 v[54:55], v[54:55], v[36:37]
	v_pk_mul_f32 v[6:7], v[6:7], v[36:37]
	;; [unrolled: 1-line block ×4, first 2 shown]
	s_waitcnt vmcnt(1)
	v_mov_b32_e32 v17, v30
	v_mov_b32_e32 v30, v19
	;; [unrolled: 1-line block ×6, first 2 shown]
	v_pk_mul_f32 v[24:25], v[24:25], v[36:37]
	v_pk_mul_f32 v[56:57], v[2:3], v[36:37]
	;; [unrolled: 1-line block ×4, first 2 shown]
	s_waitcnt vmcnt(0)
	v_mov_b32_e32 v21, v26
	v_mov_b32_e32 v26, v11
	;; [unrolled: 1-line block ×4, first 2 shown]
	v_pk_mul_f32 v[16:17], v[16:17], v[54:55]
	v_pk_mul_f32 v[2:3], v[30:31], v[6:7]
	;; [unrolled: 1-line block ×8, first 2 shown]
	v_mov_b32_e32 v10, v16
	v_mov_b32_e32 v11, v2
	;; [unrolled: 1-line block ×12, first 2 shown]
	global_store_dwordx4 v[46:47], v[10:13], off
	global_store_dwordx4 v[44:45], v[2:5], off
	global_store_dwordx4 v[46:47], v[14:17], off offset:16
	global_store_dwordx4 v[44:45], v[6:9], off offset:16
	s_andn2_b64 exec, exec, s[6:7]
	s_cbranch_execnz .LBB0_16
; %bb.17:
	s_or_b64 exec, exec, s[6:7]
	v_mad_u64_u32 v[0:1], s[0:1], v48, v34, v[0:1]
	v_cmp_ne_u32_e64 s[0:1], v39, v48
	s_orn2_b64 s[0:1], s[0:1], exec
.LBB0_18:
	s_or_b64 exec, exec, s[4:5]
	s_andn2_b64 s[2:3], vcc, exec
	s_and_b64 s[0:1], s[0:1], exec
	s_or_b64 vcc, s[2:3], s[0:1]
.LBB0_19:
	s_or_b64 exec, exec, s[26:27]
	s_and_b64 exec, exec, vcc
	s_cbranch_execz .LBB0_22
; %bb.20:
	v_mov_b32_e32 v3, 0
	v_mov_b32_e32 v1, v3
	v_lshlrev_b64 v[4:5], 5, v[0:1]
	v_mov_b32_e32 v1, s25
	v_add_co_u32_e32 v2, vcc, s24, v4
	v_addc_co_u32_e32 v1, vcc, v5, v1, vcc
	v_add_co_u32_e32 v4, vcc, 16, v2
	v_mov_b32_e32 v35, v3
	s_waitcnt lgkmcnt(0)
	v_mov_b32_e32 v37, v36
	v_addc_co_u32_e32 v5, vcc, 0, v1, vcc
	v_lshlrev_b64 v[6:7], 5, v[34:35]
	s_mov_b64 s[2:3], 0
	v_mov_b32_e32 v1, s21
	v_mov_b32_e32 v8, s23
.LBB0_21:                               ; =>This Inner Loop Header: Depth=1
	v_add_u32_e32 v2, s29, v0
	v_lshlrev_b64 v[26:27], 5, v[2:3]
	v_add_co_u32_e32 v28, vcc, s20, v26
	global_load_dwordx4 v[10:13], v[4:5], off offset:-16
	v_addc_co_u32_e32 v29, vcc, v1, v27, vcc
	global_load_dwordx4 v[14:17], v[28:29], off
	global_load_dwordx4 v[18:21], v[28:29], off offset:16
	global_load_dwordx4 v[22:25], v[4:5], off
	v_add_co_u32_e32 v4, vcc, v4, v6
	v_add_u32_e32 v0, v0, v34
	v_addc_co_u32_e32 v5, vcc, v5, v7, vcc
	v_cmp_le_i32_e32 vcc, s28, v0
	v_add_co_u32_e64 v26, s[0:1], s22, v26
	v_addc_co_u32_e64 v27, s[0:1], v8, v27, s[0:1]
	s_or_b64 s[2:3], vcc, s[2:3]
	s_waitcnt vmcnt(2)
	v_pk_mul_f32 v[14:15], v[14:15], v[36:37]
	v_pk_mul_f32 v[16:17], v[16:17], v[36:37]
	s_waitcnt vmcnt(1)
	v_pk_mul_f32 v[18:19], v[18:19], v[36:37]
	v_pk_mul_f32 v[20:21], v[20:21], v[36:37]
	;; [unrolled: 1-line block ×4, first 2 shown]
	s_waitcnt vmcnt(0)
	v_pk_mul_f32 v[14:15], v[22:23], v[18:19]
	v_pk_mul_f32 v[16:17], v[24:25], v[20:21]
	global_store_dwordx4 v[26:27], v[10:13], off
	global_store_dwordx4 v[26:27], v[14:17], off offset:16
	s_andn2_b64 exec, exec, s[2:3]
	s_cbranch_execnz .LBB0_21
.LBB0_22:
	s_endpgm
	.section	.rodata,"a",@progbits
	.p2align	6, 0x0
	.amdhsa_kernel _ZN4vllm15rms_norm_kernelIfEEvPT_PKS1_S4_fii
		.amdhsa_group_segment_fixed_size 68
		.amdhsa_private_segment_fixed_size 0
		.amdhsa_kernarg_size 296
		.amdhsa_user_sgpr_count 6
		.amdhsa_user_sgpr_private_segment_buffer 1
		.amdhsa_user_sgpr_dispatch_ptr 0
		.amdhsa_user_sgpr_queue_ptr 0
		.amdhsa_user_sgpr_kernarg_segment_ptr 1
		.amdhsa_user_sgpr_dispatch_id 0
		.amdhsa_user_sgpr_flat_scratch_init 0
		.amdhsa_user_sgpr_kernarg_preload_length 0
		.amdhsa_user_sgpr_kernarg_preload_offset 0
		.amdhsa_user_sgpr_private_segment_size 0
		.amdhsa_uses_dynamic_stack 0
		.amdhsa_system_sgpr_private_segment_wavefront_offset 0
		.amdhsa_system_sgpr_workgroup_id_x 1
		.amdhsa_system_sgpr_workgroup_id_y 0
		.amdhsa_system_sgpr_workgroup_id_z 0
		.amdhsa_system_sgpr_workgroup_info 0
		.amdhsa_system_vgpr_workitem_id 0
		.amdhsa_next_free_vgpr 60
		.amdhsa_next_free_sgpr 30
		.amdhsa_accum_offset 60
		.amdhsa_reserve_vcc 1
		.amdhsa_reserve_flat_scratch 0
		.amdhsa_float_round_mode_32 0
		.amdhsa_float_round_mode_16_64 0
		.amdhsa_float_denorm_mode_32 3
		.amdhsa_float_denorm_mode_16_64 3
		.amdhsa_dx10_clamp 1
		.amdhsa_ieee_mode 1
		.amdhsa_fp16_overflow 0
		.amdhsa_tg_split 0
		.amdhsa_exception_fp_ieee_invalid_op 0
		.amdhsa_exception_fp_denorm_src 0
		.amdhsa_exception_fp_ieee_div_zero 0
		.amdhsa_exception_fp_ieee_overflow 0
		.amdhsa_exception_fp_ieee_underflow 0
		.amdhsa_exception_fp_ieee_inexact 0
		.amdhsa_exception_int_div_zero 0
	.end_amdhsa_kernel
	.section	.text._ZN4vllm15rms_norm_kernelIfEEvPT_PKS1_S4_fii,"axG",@progbits,_ZN4vllm15rms_norm_kernelIfEEvPT_PKS1_S4_fii,comdat
.Lfunc_end0:
	.size	_ZN4vllm15rms_norm_kernelIfEEvPT_PKS1_S4_fii, .Lfunc_end0-_ZN4vllm15rms_norm_kernelIfEEvPT_PKS1_S4_fii
                                        ; -- End function
	.section	.AMDGPU.csdata,"",@progbits
; Kernel info:
; codeLenInByte = 2708
; NumSgprs: 34
; NumVgprs: 60
; NumAgprs: 0
; TotalNumVgprs: 60
; ScratchSize: 0
; MemoryBound: 0
; FloatMode: 240
; IeeeMode: 1
; LDSByteSize: 68 bytes/workgroup (compile time only)
; SGPRBlocks: 4
; VGPRBlocks: 7
; NumSGPRsForWavesPerEU: 34
; NumVGPRsForWavesPerEU: 60
; AccumOffset: 60
; Occupancy: 8
; WaveLimiterHint : 0
; COMPUTE_PGM_RSRC2:SCRATCH_EN: 0
; COMPUTE_PGM_RSRC2:USER_SGPR: 6
; COMPUTE_PGM_RSRC2:TRAP_HANDLER: 0
; COMPUTE_PGM_RSRC2:TGID_X_EN: 1
; COMPUTE_PGM_RSRC2:TGID_Y_EN: 0
; COMPUTE_PGM_RSRC2:TGID_Z_EN: 0
; COMPUTE_PGM_RSRC2:TIDIG_COMP_CNT: 0
; COMPUTE_PGM_RSRC3_GFX90A:ACCUM_OFFSET: 14
; COMPUTE_PGM_RSRC3_GFX90A:TG_SPLIT: 0
	.section	.text._ZN4vllm15rms_norm_kernelIN3c104HalfEEEvPT_PKS3_S6_fii,"axG",@progbits,_ZN4vllm15rms_norm_kernelIN3c104HalfEEEvPT_PKS3_S6_fii,comdat
	.protected	_ZN4vllm15rms_norm_kernelIN3c104HalfEEEvPT_PKS3_S6_fii ; -- Begin function _ZN4vllm15rms_norm_kernelIN3c104HalfEEEvPT_PKS3_S6_fii
	.globl	_ZN4vllm15rms_norm_kernelIN3c104HalfEEEvPT_PKS3_S6_fii
	.p2align	8
	.type	_ZN4vllm15rms_norm_kernelIN3c104HalfEEEvPT_PKS3_S6_fii,@function
_ZN4vllm15rms_norm_kernelIN3c104HalfEEEvPT_PKS3_S6_fii: ; @_ZN4vllm15rms_norm_kernelIN3c104HalfEEEvPT_PKS3_S6_fii
; %bb.0:
	s_load_dword s16, s[4:5], 0x20
	s_load_dwordx2 s[8:9], s[4:5], 0x8
                                        ; implicit-def: $sgpr15
                                        ; implicit-def: $sgpr7
	s_waitcnt lgkmcnt(0)
	s_ashr_i32 s14, s16, 3
	v_cmp_gt_i32_e64 s[0:1], s14, v0
	v_cmp_le_i32_e32 vcc, s14, v0
	s_and_saveexec_b64 s[2:3], vcc
	s_xor_b64 s[2:3], exec, s[2:3]
	s_cbranch_execz .LBB1_2
; %bb.1:
	s_load_dword s7, s[4:5], 0x34
	s_mov_b32 s15, 0
	s_waitcnt lgkmcnt(0)
	s_and_b32 s7, s7, 0xffff
.LBB1_2:
	s_or_saveexec_b64 s[2:3], s[2:3]
	s_load_dwordx2 s[10:11], s[4:5], 0x0
	s_load_dwordx2 s[12:13], s[4:5], 0x10
	v_mov_b32_e32 v3, s15
	v_mov_b32_e32 v2, s7
	s_mul_i32 s15, s14, s6
	s_xor_b64 exec, exec, s[2:3]
	s_cbranch_execz .LBB1_6
; %bb.3:
	s_load_dword s17, s[4:5], 0x34
	s_mov_b64 s[6:7], 0
	v_mov_b32_e32 v1, 0
	v_mov_b32_e32 v3, 0
	;; [unrolled: 1-line block ×3, first 2 shown]
	s_waitcnt lgkmcnt(0)
	s_and_b32 s17, s17, 0xffff
	v_mov_b32_e32 v8, v0
	v_mov_b32_e32 v4, 0
	;; [unrolled: 1-line block ×8, first 2 shown]
.LBB1_4:                                ; =>This Inner Loop Header: Depth=1
	v_add_u32_e32 v2, s15, v8
	v_lshlrev_b64 v[14:15], 4, v[2:3]
	v_add_co_u32_e32 v14, vcc, s8, v14
	v_addc_co_u32_e32 v15, vcc, v6, v15, vcc
	global_load_dwordx4 v[14:17], v[14:15], off
	v_add_u32_e32 v8, s17, v8
	v_cmp_le_i32_e32 vcc, s14, v8
	s_or_b64 s[6:7], vcc, s[6:7]
	s_waitcnt vmcnt(0)
	v_lshrrev_b32_e32 v2, 16, v14
	v_lshrrev_b32_e32 v13, 16, v15
	;; [unrolled: 1-line block ×4, first 2 shown]
	v_fma_f16 v12, v14, v14, v12
	v_fma_f16 v10, v15, v15, v10
	;; [unrolled: 1-line block ×8, first 2 shown]
	s_andn2_b64 exec, exec, s[6:7]
	s_cbranch_execnz .LBB1_4
; %bb.5:
	s_or_b64 exec, exec, s[6:7]
	v_add_f16_e32 v2, v12, v11
	v_add_f16_e32 v2, v2, v10
	;; [unrolled: 1-line block ×7, first 2 shown]
	v_cvt_f32_f16_e32 v3, v1
	v_mov_b32_e32 v2, s17
.LBB1_6:
	s_or_b64 exec, exec, s[2:3]
	v_mbcnt_lo_u32_b32 v1, -1, 0
	v_mbcnt_hi_u32_b32 v1, -1, v1
	v_and_b32_e32 v4, 63, v1
	v_cmp_ne_u32_e32 vcc, 63, v4
	v_addc_co_u32_e32 v5, vcc, 0, v1, vcc
	v_lshlrev_b32_e32 v5, 2, v5
	ds_bpermute_b32 v5, v5, v3
	v_and_b32_e32 v6, 0x3c0, v0
	v_sub_u32_e64 v6, v2, v6 clamp
	v_add_u32_e32 v7, 1, v1
	v_cmp_lt_u32_e32 vcc, v7, v6
	s_waitcnt lgkmcnt(0)
	v_add_f32_e32 v5, v3, v5
	v_cndmask_b32_e32 v3, v3, v5, vcc
	v_cmp_gt_u32_e32 vcc, 62, v4
	v_cndmask_b32_e64 v5, 0, 1, vcc
	v_lshlrev_b32_e32 v5, 1, v5
	v_add_lshl_u32 v5, v5, v1, 2
	ds_bpermute_b32 v5, v5, v3
	v_add_u32_e32 v7, 2, v1
	v_cmp_lt_u32_e32 vcc, v7, v6
	v_add_u32_e32 v7, 4, v1
	s_waitcnt lgkmcnt(0)
	v_add_f32_e32 v5, v3, v5
	v_cndmask_b32_e32 v3, v3, v5, vcc
	v_cmp_gt_u32_e32 vcc, 60, v4
	v_cndmask_b32_e64 v5, 0, 1, vcc
	v_lshlrev_b32_e32 v5, 2, v5
	v_add_lshl_u32 v5, v5, v1, 2
	ds_bpermute_b32 v5, v5, v3
	v_cmp_lt_u32_e32 vcc, v7, v6
	v_add_u32_e32 v7, 8, v1
	s_waitcnt lgkmcnt(0)
	v_add_f32_e32 v5, v3, v5
	v_cndmask_b32_e32 v3, v3, v5, vcc
	v_cmp_gt_u32_e32 vcc, 56, v4
	v_cndmask_b32_e64 v5, 0, 1, vcc
	v_lshlrev_b32_e32 v5, 3, v5
	v_add_lshl_u32 v5, v5, v1, 2
	ds_bpermute_b32 v5, v5, v3
	;; [unrolled: 10-line block ×3, first 2 shown]
	v_cmp_lt_u32_e32 vcc, v7, v6
	s_waitcnt lgkmcnt(0)
	v_add_f32_e32 v5, v3, v5
	v_cndmask_b32_e32 v3, v3, v5, vcc
	v_cmp_gt_u32_e32 vcc, 32, v4
	v_cndmask_b32_e64 v4, 0, 1, vcc
	v_lshlrev_b32_e32 v4, 5, v4
	v_add_lshl_u32 v4, v4, v1, 2
	ds_bpermute_b32 v4, v4, v3
	v_add_u32_e32 v5, 32, v1
	v_cmp_lt_u32_e32 vcc, v5, v6
	s_waitcnt lgkmcnt(0)
	v_add_f32_e32 v4, v3, v4
	v_cndmask_b32_e32 v3, v3, v4, vcc
	v_cmp_eq_u32_e32 vcc, 0, v1
	s_and_saveexec_b64 s[2:3], vcc
	s_cbranch_execz .LBB1_8
; %bb.7:
	v_lshrrev_b32_e32 v4, 4, v0
	v_and_b32_e32 v4, 60, v4
	ds_write_b32 v4, v3
.LBB1_8:
	s_or_b64 exec, exec, s[2:3]
	v_cmp_gt_u32_e32 vcc, 16, v0
	s_waitcnt lgkmcnt(0)
	s_barrier
	s_and_saveexec_b64 s[6:7], vcc
	s_cbranch_execz .LBB1_10
; %bb.9:
	v_lshlrev_b32_e32 v3, 2, v1
	ds_read_b32 v3, v3
	v_and_b32_e32 v4, 15, v1
	v_cmp_ne_u32_e32 vcc, 15, v4
	v_addc_co_u32_e32 v5, vcc, 0, v1, vcc
	v_lshlrev_b32_e32 v5, 2, v5
	s_waitcnt lgkmcnt(0)
	ds_bpermute_b32 v5, v5, v3
	v_add_u32_e32 v6, 63, v2
	v_lshrrev_b32_e32 v6, 6, v6
	v_add_u32_e32 v7, 1, v4
	v_cmp_gt_u32_e64 s[2:3], 14, v4
	v_cmp_lt_u32_e32 vcc, v7, v6
	v_cndmask_b32_e64 v7, 0, 1, s[2:3]
	s_waitcnt lgkmcnt(0)
	v_add_f32_e32 v5, v3, v5
	v_lshlrev_b32_e32 v7, 1, v7
	v_cndmask_b32_e32 v5, v3, v5, vcc
	v_add_lshl_u32 v7, v7, v1, 2
	ds_bpermute_b32 v7, v7, v5
	v_add_u32_e32 v8, 2, v4
	v_cmp_lt_u32_e64 s[2:3], v8, v6
	v_add_u32_e32 v8, 4, v4
	s_waitcnt lgkmcnt(0)
	v_add_f32_e32 v7, v5, v7
	v_cndmask_b32_e64 v5, v5, v7, s[2:3]
	v_cmp_gt_u32_e64 s[2:3], 12, v4
	v_cndmask_b32_e64 v7, 0, 1, s[2:3]
	v_lshlrev_b32_e32 v7, 2, v7
	v_add_lshl_u32 v7, v7, v1, 2
	ds_bpermute_b32 v7, v7, v5
	v_cmp_lt_u32_e64 s[2:3], v8, v6
	s_waitcnt lgkmcnt(0)
	v_add_f32_e32 v7, v5, v7
	v_cndmask_b32_e64 v5, v5, v7, s[2:3]
	v_cmp_gt_u32_e64 s[2:3], 8, v4
	v_cndmask_b32_e64 v7, 0, 1, s[2:3]
	v_lshlrev_b32_e32 v7, 3, v7
	v_add_lshl_u32 v1, v7, v1, 2
	ds_bpermute_b32 v1, v1, v5
	v_add_u32_e32 v4, 8, v4
	v_cmp_lt_u32_e64 s[2:3], v4, v6
	s_waitcnt lgkmcnt(0)
	v_add_f32_e32 v1, v5, v1
	v_cndmask_b32_e64 v1, v5, v1, s[2:3]
	v_cndmask_b32_e32 v3, v3, v1, vcc
.LBB1_10:
	s_or_b64 exec, exec, s[6:7]
	v_cmp_eq_u32_e32 vcc, 0, v0
	s_and_saveexec_b64 s[2:3], vcc
	s_cbranch_execz .LBB1_12
; %bb.11:
	v_cvt_f32_i32_e32 v1, s16
	s_load_dword s6, s[4:5], 0x18
	v_div_scale_f32 v4, s[4:5], v1, v1, v3
	v_rcp_f32_e32 v5, v4
	v_div_scale_f32 v6, vcc, v3, v1, v3
	s_mov_b32 s4, 0x800000
	v_fma_f32 v7, -v4, v5, 1.0
	v_fmac_f32_e32 v5, v7, v5
	v_mul_f32_e32 v7, v6, v5
	v_fma_f32 v8, -v4, v7, v6
	v_fmac_f32_e32 v7, v8, v5
	v_fma_f32 v4, -v4, v7, v6
	v_div_fmas_f32 v4, v4, v5, v7
	v_div_fixup_f32 v1, v4, v1, v3
	s_waitcnt lgkmcnt(0)
	v_add_f32_e32 v1, s6, v1
	v_mul_f32_e32 v3, 0x4b800000, v1
	v_cmp_gt_f32_e32 vcc, s4, v1
	v_cndmask_b32_e32 v1, v1, v3, vcc
	v_rsq_f32_e32 v1, v1
	v_mul_f32_e32 v3, 0x45800000, v1
	v_cndmask_b32_e32 v1, v1, v3, vcc
	v_mov_b32_e32 v3, 0
	ds_write_b32 v3, v1 offset:64
.LBB1_12:
	s_or_b64 exec, exec, s[2:3]
	s_waitcnt lgkmcnt(0)
	s_barrier
	s_and_saveexec_b64 s[2:3], s[0:1]
	s_cbranch_execz .LBB1_15
; %bb.13:
	v_mov_b32_e32 v5, 0
	ds_read_b32 v6, v5 offset:64
	v_lshlrev_b32_e32 v1, 4, v0
	v_mov_b32_e32 v3, s13
	v_add_co_u32_e32 v1, vcc, s12, v1
	v_addc_co_u32_e32 v3, vcc, 0, v3, vcc
	v_add_co_u32_e32 v8, vcc, 8, v1
	v_addc_co_u32_e32 v9, vcc, 0, v3, vcc
	v_mov_b32_e32 v3, v5
	s_waitcnt lgkmcnt(0)
	v_mov_b32_e32 v7, v6
	v_lshlrev_b64 v[10:11], 4, v[2:3]
	s_mov_b64 s[2:3], 0
	v_mov_b32_e32 v1, s9
	v_mov_b32_e32 v3, s11
	;; [unrolled: 1-line block ×4, first 2 shown]
.LBB1_14:                               ; =>This Inner Loop Header: Depth=1
	v_add_u32_e32 v4, s15, v0
	v_lshlrev_b64 v[22:23], 4, v[4:5]
	v_add_co_u32_e32 v24, vcc, s8, v22
	v_addc_co_u32_e32 v25, vcc, v1, v23, vcc
	global_load_dwordx4 v[14:17], v[24:25], off
	global_load_dwordx4 v[18:21], v[8:9], off offset:-8
	v_add_co_u32_e32 v8, vcc, v8, v10
	v_add_u32_e32 v0, v0, v2
	v_addc_co_u32_e32 v9, vcc, v9, v11, vcc
	v_cmp_le_i32_e32 vcc, s14, v0
	v_add_co_u32_e64 v22, s[0:1], s10, v22
	v_addc_co_u32_e64 v23, s[0:1], v3, v23, s[0:1]
	s_or_b64 s[2:3], vcc, s[2:3]
	s_waitcnt vmcnt(1)
	v_cvt_f32_f16_e32 v24, v14
	v_cvt_f32_f16_sdwa v25, v14 dst_sel:DWORD dst_unused:UNUSED_PAD src0_sel:WORD_1
	v_cvt_f32_f16_e32 v14, v15
	v_cvt_f32_f16_sdwa v15, v15 dst_sel:DWORD dst_unused:UNUSED_PAD src0_sel:WORD_1
	v_cvt_f32_f16_e32 v26, v16
	v_cvt_f32_f16_e32 v28, v17
	v_cvt_f32_f16_sdwa v29, v17 dst_sel:DWORD dst_unused:UNUSED_PAD src0_sel:WORD_1
	v_cvt_f32_f16_sdwa v27, v16 dst_sel:DWORD dst_unused:UNUSED_PAD src0_sel:WORD_1
	v_pk_mul_f32 v[14:15], v[12:13], v[14:15]
	v_pk_mul_f32 v[16:17], v[6:7], v[24:25]
	;; [unrolled: 1-line block ×4, first 2 shown]
	v_cvt_f16_f32_e32 v4, v17
	v_cvt_f16_f32_e32 v16, v16
	;; [unrolled: 1-line block ×8, first 2 shown]
	v_pack_b32_f16 v14, v14, v15
	v_pack_b32_f16 v4, v16, v4
	;; [unrolled: 1-line block ×4, first 2 shown]
	s_waitcnt vmcnt(0)
	v_pk_mul_f16 v15, v19, v14
	v_pk_mul_f16 v14, v18, v4
	;; [unrolled: 1-line block ×4, first 2 shown]
	global_store_dwordx4 v[22:23], v[14:17], off
	s_andn2_b64 exec, exec, s[2:3]
	s_cbranch_execnz .LBB1_14
.LBB1_15:
	s_endpgm
	.section	.rodata,"a",@progbits
	.p2align	6, 0x0
	.amdhsa_kernel _ZN4vllm15rms_norm_kernelIN3c104HalfEEEvPT_PKS3_S6_fii
		.amdhsa_group_segment_fixed_size 68
		.amdhsa_private_segment_fixed_size 0
		.amdhsa_kernarg_size 296
		.amdhsa_user_sgpr_count 6
		.amdhsa_user_sgpr_private_segment_buffer 1
		.amdhsa_user_sgpr_dispatch_ptr 0
		.amdhsa_user_sgpr_queue_ptr 0
		.amdhsa_user_sgpr_kernarg_segment_ptr 1
		.amdhsa_user_sgpr_dispatch_id 0
		.amdhsa_user_sgpr_flat_scratch_init 0
		.amdhsa_user_sgpr_kernarg_preload_length 0
		.amdhsa_user_sgpr_kernarg_preload_offset 0
		.amdhsa_user_sgpr_private_segment_size 0
		.amdhsa_uses_dynamic_stack 0
		.amdhsa_system_sgpr_private_segment_wavefront_offset 0
		.amdhsa_system_sgpr_workgroup_id_x 1
		.amdhsa_system_sgpr_workgroup_id_y 0
		.amdhsa_system_sgpr_workgroup_id_z 0
		.amdhsa_system_sgpr_workgroup_info 0
		.amdhsa_system_vgpr_workitem_id 0
		.amdhsa_next_free_vgpr 30
		.amdhsa_next_free_sgpr 18
		.amdhsa_accum_offset 32
		.amdhsa_reserve_vcc 1
		.amdhsa_reserve_flat_scratch 0
		.amdhsa_float_round_mode_32 0
		.amdhsa_float_round_mode_16_64 0
		.amdhsa_float_denorm_mode_32 3
		.amdhsa_float_denorm_mode_16_64 3
		.amdhsa_dx10_clamp 1
		.amdhsa_ieee_mode 1
		.amdhsa_fp16_overflow 0
		.amdhsa_tg_split 0
		.amdhsa_exception_fp_ieee_invalid_op 0
		.amdhsa_exception_fp_denorm_src 0
		.amdhsa_exception_fp_ieee_div_zero 0
		.amdhsa_exception_fp_ieee_overflow 0
		.amdhsa_exception_fp_ieee_underflow 0
		.amdhsa_exception_fp_ieee_inexact 0
		.amdhsa_exception_int_div_zero 0
	.end_amdhsa_kernel
	.section	.text._ZN4vllm15rms_norm_kernelIN3c104HalfEEEvPT_PKS3_S6_fii,"axG",@progbits,_ZN4vllm15rms_norm_kernelIN3c104HalfEEEvPT_PKS3_S6_fii,comdat
.Lfunc_end1:
	.size	_ZN4vllm15rms_norm_kernelIN3c104HalfEEEvPT_PKS3_S6_fii, .Lfunc_end1-_ZN4vllm15rms_norm_kernelIN3c104HalfEEEvPT_PKS3_S6_fii
                                        ; -- End function
	.section	.AMDGPU.csdata,"",@progbits
; Kernel info:
; codeLenInByte = 1540
; NumSgprs: 22
; NumVgprs: 30
; NumAgprs: 0
; TotalNumVgprs: 30
; ScratchSize: 0
; MemoryBound: 0
; FloatMode: 240
; IeeeMode: 1
; LDSByteSize: 68 bytes/workgroup (compile time only)
; SGPRBlocks: 2
; VGPRBlocks: 3
; NumSGPRsForWavesPerEU: 22
; NumVGPRsForWavesPerEU: 30
; AccumOffset: 32
; Occupancy: 8
; WaveLimiterHint : 0
; COMPUTE_PGM_RSRC2:SCRATCH_EN: 0
; COMPUTE_PGM_RSRC2:USER_SGPR: 6
; COMPUTE_PGM_RSRC2:TRAP_HANDLER: 0
; COMPUTE_PGM_RSRC2:TGID_X_EN: 1
; COMPUTE_PGM_RSRC2:TGID_Y_EN: 0
; COMPUTE_PGM_RSRC2:TGID_Z_EN: 0
; COMPUTE_PGM_RSRC2:TIDIG_COMP_CNT: 0
; COMPUTE_PGM_RSRC3_GFX90A:ACCUM_OFFSET: 7
; COMPUTE_PGM_RSRC3_GFX90A:TG_SPLIT: 0
	.section	.text._ZN4vllm15rms_norm_kernelIN3c108BFloat16EEEvPT_PKS3_S6_fii,"axG",@progbits,_ZN4vllm15rms_norm_kernelIN3c108BFloat16EEEvPT_PKS3_S6_fii,comdat
	.protected	_ZN4vllm15rms_norm_kernelIN3c108BFloat16EEEvPT_PKS3_S6_fii ; -- Begin function _ZN4vllm15rms_norm_kernelIN3c108BFloat16EEEvPT_PKS3_S6_fii
	.globl	_ZN4vllm15rms_norm_kernelIN3c108BFloat16EEEvPT_PKS3_S6_fii
	.p2align	8
	.type	_ZN4vllm15rms_norm_kernelIN3c108BFloat16EEEvPT_PKS3_S6_fii,@function
_ZN4vllm15rms_norm_kernelIN3c108BFloat16EEEvPT_PKS3_S6_fii: ; @_ZN4vllm15rms_norm_kernelIN3c108BFloat16EEEvPT_PKS3_S6_fii
; %bb.0:
	s_load_dword s24, s[4:5], 0x20
	s_load_dwordx2 s[34:35], s[4:5], 0x8
                                        ; implicit-def: $sgpr7
                                        ; implicit-def: $sgpr2_sgpr3
	s_waitcnt lgkmcnt(0)
	s_ashr_i32 s33, s24, 3
	v_cmp_gt_i32_e64 s[0:1], s33, v0
	v_cmp_le_i32_e32 vcc, s33, v0
	s_and_saveexec_b64 s[8:9], vcc
	s_xor_b64 s[8:9], exec, s[8:9]
; %bb.1:
	s_add_u32 s2, s4, 40
	s_addc_u32 s3, s5, 0
	s_mov_b32 s7, 0
; %bb.2:
	s_or_saveexec_b64 s[18:19], s[8:9]
	s_load_dwordx2 s[36:37], s[4:5], 0x0
	s_load_dwordx2 s[38:39], s[4:5], 0x10
	v_mov_b32_e32 v6, s7
	v_pk_mov_b32 v[2:3], s[2:3], s[2:3] op_sel:[0,1]
	s_mul_i32 s46, s33, s6
	v_mov_b32_e32 v7, s7
	v_mov_b32_e32 v8, s7
	;; [unrolled: 1-line block ×3, first 2 shown]
	s_xor_b64 exec, exec, s[18:19]
	s_cbranch_execz .LBB2_6
; %bb.3:
	s_load_dword s2, s[4:5], 0x34
	s_add_u32 s20, s4, 40
	s_mov_b64 s[22:23], 0
	v_mov_b32_e32 v9, 0
	s_addc_u32 s21, s5, 0
	s_waitcnt lgkmcnt(0)
	s_and_b32 s25, s2, 0xffff
	v_mov_b32_e32 v3, 0
	v_mov_b32_e32 v1, s35
	s_mov_b32 s26, 0xff0008
	s_mov_b32 s27, 0x800ff
	s_movk_i32 s28, 0x7fff
	v_mov_b32_e32 v4, 0x7fc0
	s_mov_b32 s29, 0x5040100
	v_mov_b32_e32 v5, v0
	v_mov_b32_e32 v8, 0
	;; [unrolled: 1-line block ×4, first 2 shown]
.LBB2_4:                                ; =>This Inner Loop Header: Depth=1
	v_add_u32_e32 v2, s46, v5
	v_pk_lshrrev_b16 v16, s26, v7
	v_and_b32_e32 v17, 0xff0000, v7
	v_and_b32_e32 v18, 0xff, v7
	v_pk_lshrrev_b16 v19, s27, v7
	v_pk_lshrrev_b16 v20, s26, v6
	v_and_b32_e32 v21, 0xff0000, v6
	v_and_b32_e32 v22, 0xff, v6
	v_pk_lshrrev_b16 v23, s27, v6
	v_lshlrev_b64 v[6:7], 4, v[2:3]
	v_and_b32_e32 v11, 0xff0000, v9
	v_and_b32_e32 v13, 0xff0000, v8
	v_add_co_u32_e64 v6, s[2:3], s34, v6
	v_pk_lshrrev_b16 v10, s26, v9
	v_and_b32_e32 v12, 0xff, v9
	v_pk_lshrrev_b16 v9, s27, v9
	v_pk_lshrrev_b16 v14, s26, v8
	v_and_b32_e32 v15, 0xff, v8
	v_pk_lshrrev_b16 v8, s27, v8
	v_and_b32_e32 v2, 0xffff0000, v11
	v_and_b32_e32 v13, 0xffff0000, v13
	v_addc_co_u32_e64 v7, s[2:3], v1, v7, s[2:3]
	v_lshl_or_b32 v11, v9, 8, v2
	v_lshl_or_b32 v13, v8, 8, v13
	global_load_dwordx4 v[6:9], v[6:7], off
	v_lshlrev_b32_e32 v12, 16, v12
	v_lshlrev_b32_e32 v15, 16, v15
	v_and_b32_e32 v17, 0xffff0000, v17
	v_lshlrev_b32_e32 v18, 16, v18
	v_and_b32_e32 v21, 0xffff0000, v21
	v_lshlrev_b32_e32 v22, 16, v22
	v_lshl_or_b32 v10, v10, 24, v12
	v_lshl_or_b32 v12, v14, 24, v15
	;; [unrolled: 1-line block ×6, first 2 shown]
	v_add_u32_e32 v5, s25, v5
	v_cmp_le_i32_e32 vcc, s33, v5
	s_or_b64 s[22:23], vcc, s[22:23]
	s_waitcnt vmcnt(0)
	v_lshrrev_b16_e32 v2, 8, v6
	v_and_b32_e32 v18, 0xff, v6
	v_and_b32_e32 v19, 0xffff0000, v6
	v_lshrrev_b16_e32 v6, 8, v7
	v_lshrrev_b16_e32 v22, 8, v8
	v_and_b32_e32 v23, 0xff, v8
	v_and_b32_e32 v21, 0xffff0000, v8
	v_lshrrev_b16_e32 v8, 8, v9
	v_and_b32_e32 v20, 0xff, v7
	v_and_b32_e32 v24, 0xff, v9
	v_lshlrev_b32_e32 v2, 24, v2
	v_lshlrev_b32_e32 v6, 24, v6
	;; [unrolled: 1-line block ×4, first 2 shown]
	v_and_b32_e32 v7, 0xffff0000, v7
	v_and_b32_e32 v9, 0xffff0000, v9
	v_lshl_or_b32 v18, v18, 16, v2
	v_lshl_or_b32 v6, v20, 16, v6
	;; [unrolled: 1-line block ×4, first 2 shown]
	v_pk_mul_f32 v[18:19], v[18:19], v[18:19]
	v_pk_mul_f32 v[6:7], v[6:7], v[6:7]
	;; [unrolled: 1-line block ×4, first 2 shown]
	v_bfe_u32 v2, v18, 16, 1
	v_bfe_u32 v22, v19, 16, 1
	;; [unrolled: 1-line block ×8, first 2 shown]
	v_add3_u32 v22, v19, v22, s28
	v_add3_u32 v2, v18, v2, s28
	;; [unrolled: 1-line block ×8, first 2 shown]
	v_lshrrev_b32_e32 v2, 16, v2
	v_lshrrev_b32_e32 v22, 16, v22
	v_cmp_o_f32_e32 vcc, v19, v19
	v_lshrrev_b32_e32 v19, 16, v23
	v_lshrrev_b32_e32 v23, 16, v24
	v_cmp_o_f32_e64 s[2:3], v6, v6
	v_cmp_o_f32_e64 s[6:7], v7, v7
	v_lshrrev_b32_e32 v6, 16, v25
	v_lshrrev_b32_e32 v7, 16, v26
	v_cmp_o_f32_e64 s[8:9], v20, v20
	v_cmp_o_f32_e64 s[10:11], v21, v21
	;; [unrolled: 4-line block ×3, first 2 shown]
	v_cmp_o_f32_e64 s[16:17], v18, v18
	v_cndmask_b32_e64 v2, v4, v2, s[16:17]
	v_cndmask_b32_e32 v8, v4, v22, vcc
	v_cndmask_b32_e64 v9, v4, v19, s[2:3]
	v_cndmask_b32_e64 v18, v4, v23, s[6:7]
	v_cndmask_b32_e64 v6, v4, v6, s[8:9]
	v_cndmask_b32_e64 v7, v4, v7, s[10:11]
	v_cndmask_b32_e64 v19, v4, v20, s[12:13]
	v_cndmask_b32_e64 v20, v4, v21, s[14:15]
	v_perm_b32 v2, v8, v2, s29
	v_perm_b32 v8, v18, v9, s29
	;; [unrolled: 1-line block ×4, first 2 shown]
	v_and_b32_e32 v9, 0xff, v2
	v_pk_lshrrev_b16 v18, s27, v2
	v_pk_lshrrev_b16 v19, s26, v2
	v_and_b32_e32 v2, 0xff0000, v2
	v_and_b32_e32 v20, 0xff, v8
	v_pk_lshrrev_b16 v21, s27, v8
	v_pk_lshrrev_b16 v22, s26, v8
	v_and_b32_e32 v8, 0xff0000, v8
	;; [unrolled: 4-line block ×4, first 2 shown]
	v_and_b32_e32 v2, 0xffff0000, v2
	v_lshlrev_b32_e32 v9, 16, v9
	v_and_b32_e32 v8, 0xffff0000, v8
	v_lshlrev_b32_e32 v20, 16, v20
	;; [unrolled: 2-line block ×4, first 2 shown]
	v_lshl_or_b32 v7, v18, 8, v2
	v_lshl_or_b32 v6, v19, 24, v9
	;; [unrolled: 1-line block ×8, first 2 shown]
	v_pk_add_f32 v[6:7], v[10:11], v[6:7]
	v_pk_add_f32 v[8:9], v[12:13], v[8:9]
	;; [unrolled: 1-line block ×4, first 2 shown]
	v_bfe_u32 v2, v6, 16, 1
	v_bfe_u32 v14, v7, 16, 1
	;; [unrolled: 1-line block ×8, first 2 shown]
	v_add3_u32 v14, v7, v14, s28
	v_add3_u32 v2, v6, v2, s28
	;; [unrolled: 1-line block ×8, first 2 shown]
	v_lshrrev_b32_e32 v2, 16, v2
	v_lshrrev_b32_e32 v14, 16, v14
	v_cmp_o_f32_e32 vcc, v7, v7
	v_lshrrev_b32_e32 v7, 16, v15
	v_lshrrev_b32_e32 v15, 16, v16
	v_cmp_o_f32_e64 s[2:3], v8, v8
	v_cmp_o_f32_e64 s[6:7], v9, v9
	v_lshrrev_b32_e32 v8, 16, v17
	v_lshrrev_b32_e32 v9, 16, v18
	v_cmp_o_f32_e64 s[8:9], v10, v10
	v_cmp_o_f32_e64 s[10:11], v11, v11
	;; [unrolled: 4-line block ×3, first 2 shown]
	v_cmp_o_f32_e64 s[16:17], v6, v6
	v_cndmask_b32_e64 v2, v4, v2, s[16:17]
	v_cndmask_b32_e32 v6, v4, v14, vcc
	v_cndmask_b32_e64 v7, v4, v7, s[2:3]
	v_cndmask_b32_e64 v12, v4, v15, s[6:7]
	;; [unrolled: 1-line block ×6, first 2 shown]
	v_perm_b32 v9, v6, v2, s29
	v_perm_b32 v8, v12, v7, s29
	;; [unrolled: 1-line block ×4, first 2 shown]
	s_andn2_b64 exec, exec, s[22:23]
	s_cbranch_execnz .LBB2_4
; %bb.5:
	s_or_b64 exec, exec, s[22:23]
	v_pk_mov_b32 v[2:3], s[20:21], s[20:21] op_sel:[0,1]
.LBB2_6:
	s_or_b64 exec, exec, s[18:19]
	global_load_ushort v30, v[2:3], off offset:12
	v_and_b32_e32 v4, 0xff, v9
	v_lshrrev_b16_e32 v1, 8, v9
	s_movk_i32 s2, 0xff
	v_lshlrev_b32_e32 v4, 16, v4
	v_lshl_or_b32 v1, v1, 24, v4
	v_and_b32_sdwa v4, v9, s2 dst_sel:DWORD dst_unused:UNUSED_PAD src0_sel:WORD_1 src1_sel:DWORD
	v_lshlrev_b32_e32 v4, 16, v4
	s_mov_b32 s3, 0xff000000
	v_and_or_b32 v4, v9, s3, v4
	v_add_f32_e32 v1, v1, v4
	v_bfe_u32 v4, v1, 16, 1
	s_movk_i32 s6, 0x7fff
	v_add3_u32 v4, v1, v4, s6
	v_lshrrev_b32_e32 v4, 16, v4
	v_mov_b32_e32 v5, 0x7fc0
	v_cmp_o_f32_e32 vcc, v1, v1
	v_cndmask_b32_e32 v1, v5, v4, vcc
	v_lshrrev_b16_e32 v4, 8, v1
	v_and_b32_e32 v1, 0xff, v1
	v_lshlrev_b32_e32 v1, 16, v1
	v_and_b32_e32 v9, 0xff, v8
	v_lshl_or_b32 v1, v4, 24, v1
	v_lshrrev_b16_e32 v4, 8, v8
	v_lshlrev_b32_e32 v9, 16, v9
	v_lshl_or_b32 v4, v4, 24, v9
	v_add_f32_e32 v1, v4, v1
	v_bfe_u32 v4, v1, 16, 1
	v_add3_u32 v4, v1, v4, s6
	v_lshrrev_b32_e32 v4, 16, v4
	v_cmp_o_f32_e32 vcc, v1, v1
	v_cndmask_b32_e32 v1, v5, v4, vcc
	v_lshrrev_b16_e32 v4, 8, v1
	v_and_b32_e32 v1, 0xff, v1
	v_and_b32_sdwa v2, v8, s2 dst_sel:DWORD dst_unused:UNUSED_PAD src0_sel:WORD_1 src1_sel:DWORD
	v_lshlrev_b32_e32 v1, 16, v1
	v_lshlrev_b32_e32 v2, 16, v2
	v_lshl_or_b32 v1, v4, 24, v1
	v_and_or_b32 v2, v8, s3, v2
	v_add_f32_e32 v1, v2, v1
	v_bfe_u32 v2, v1, 16, 1
	v_add3_u32 v2, v1, v2, s6
	v_lshrrev_b32_e32 v2, 16, v2
	v_cmp_o_f32_e32 vcc, v1, v1
	v_cndmask_b32_e32 v1, v5, v2, vcc
	v_lshrrev_b16_e32 v2, 8, v1
	v_and_b32_e32 v1, 0xff, v1
	v_lshlrev_b32_e32 v1, 16, v1
	v_and_b32_e32 v3, 0xff, v7
	v_lshl_or_b32 v1, v2, 24, v1
	v_lshrrev_b16_e32 v2, 8, v7
	v_lshlrev_b32_e32 v3, 16, v3
	v_lshl_or_b32 v2, v2, 24, v3
	v_add_f32_e32 v1, v2, v1
	v_bfe_u32 v2, v1, 16, 1
	v_add3_u32 v2, v1, v2, s6
	v_lshrrev_b32_e32 v2, 16, v2
	v_cmp_o_f32_e32 vcc, v1, v1
	v_cndmask_b32_e32 v1, v5, v2, vcc
	v_lshrrev_b16_e32 v2, 8, v1
	v_and_b32_e32 v1, 0xff, v1
	v_lshlrev_b32_e32 v1, 16, v1
	v_lshl_or_b32 v1, v2, 24, v1
	v_and_b32_sdwa v2, v7, s2 dst_sel:DWORD dst_unused:UNUSED_PAD src0_sel:WORD_1 src1_sel:DWORD
	v_lshlrev_b32_e32 v2, 16, v2
	v_and_or_b32 v2, v7, s3, v2
	v_add_f32_e32 v1, v2, v1
	v_bfe_u32 v2, v1, 16, 1
	v_add3_u32 v2, v1, v2, s6
	v_lshrrev_b32_e32 v2, 16, v2
	v_cmp_o_f32_e32 vcc, v1, v1
	v_cndmask_b32_e32 v1, v5, v2, vcc
	v_lshrrev_b16_e32 v2, 8, v1
	v_and_b32_e32 v1, 0xff, v1
	v_lshlrev_b32_e32 v1, 16, v1
	v_and_b32_e32 v3, 0xff, v6
	v_lshl_or_b32 v1, v2, 24, v1
	v_lshrrev_b16_e32 v2, 8, v6
	v_lshlrev_b32_e32 v3, 16, v3
	v_lshl_or_b32 v2, v2, 24, v3
	v_add_f32_e32 v1, v2, v1
	v_bfe_u32 v2, v1, 16, 1
	v_add3_u32 v2, v1, v2, s6
	v_lshrrev_b32_e32 v2, 16, v2
	v_cmp_o_f32_e32 vcc, v1, v1
	v_cndmask_b32_e32 v1, v5, v2, vcc
	v_lshrrev_b16_e32 v2, 8, v1
	v_and_b32_e32 v1, 0xff, v1
	v_lshlrev_b32_e32 v1, 16, v1
	v_lshl_or_b32 v1, v2, 24, v1
	v_and_b32_sdwa v2, v6, s2 dst_sel:DWORD dst_unused:UNUSED_PAD src0_sel:WORD_1 src1_sel:DWORD
	v_lshlrev_b32_e32 v2, 16, v2
	v_and_or_b32 v2, v6, s3, v2
	v_add_f32_e32 v1, v2, v1
	v_bfe_u32 v2, v1, 16, 1
	v_add3_u32 v2, v1, v2, s6
	v_lshrrev_b32_e32 v2, 16, v2
	v_cmp_o_f32_e32 vcc, v1, v1
	v_cndmask_b32_e32 v1, v5, v2, vcc
	v_lshrrev_b16_e32 v2, 8, v1
	v_and_b32_e32 v1, 0xff, v1
	v_lshlrev_b32_e32 v1, 16, v1
	v_lshl_or_b32 v2, v2, 24, v1
	v_mbcnt_lo_u32_b32 v1, -1, 0
	v_mbcnt_hi_u32_b32 v1, -1, v1
	v_and_b32_e32 v3, 63, v1
	v_cmp_ne_u32_e32 vcc, 63, v3
	v_addc_co_u32_e32 v4, vcc, 0, v1, vcc
	v_lshlrev_b32_e32 v4, 2, v4
	ds_bpermute_b32 v4, v4, v2
	v_and_b32_e32 v5, 0x3c0, v0
	s_waitcnt vmcnt(0)
	v_sub_u32_e64 v5, v30, v5 clamp
	v_add_u32_e32 v6, 1, v1
	v_cmp_lt_u32_e32 vcc, v6, v5
	s_waitcnt lgkmcnt(0)
	v_add_f32_e32 v4, v2, v4
	v_cndmask_b32_e32 v2, v2, v4, vcc
	v_cmp_gt_u32_e32 vcc, 62, v3
	v_cndmask_b32_e64 v4, 0, 1, vcc
	v_lshlrev_b32_e32 v4, 1, v4
	v_add_lshl_u32 v4, v4, v1, 2
	ds_bpermute_b32 v4, v4, v2
	v_add_u32_e32 v6, 2, v1
	v_cmp_lt_u32_e32 vcc, v6, v5
	v_add_u32_e32 v6, 4, v1
	s_waitcnt lgkmcnt(0)
	v_add_f32_e32 v4, v2, v4
	v_cndmask_b32_e32 v2, v2, v4, vcc
	v_cmp_gt_u32_e32 vcc, 60, v3
	v_cndmask_b32_e64 v4, 0, 1, vcc
	v_lshlrev_b32_e32 v4, 2, v4
	v_add_lshl_u32 v4, v4, v1, 2
	ds_bpermute_b32 v4, v4, v2
	v_cmp_lt_u32_e32 vcc, v6, v5
	v_add_u32_e32 v6, 8, v1
	s_waitcnt lgkmcnt(0)
	v_add_f32_e32 v4, v2, v4
	v_cndmask_b32_e32 v2, v2, v4, vcc
	v_cmp_gt_u32_e32 vcc, 56, v3
	v_cndmask_b32_e64 v4, 0, 1, vcc
	v_lshlrev_b32_e32 v4, 3, v4
	v_add_lshl_u32 v4, v4, v1, 2
	ds_bpermute_b32 v4, v4, v2
	v_cmp_lt_u32_e32 vcc, v6, v5
	v_add_u32_e32 v6, 16, v1
	s_waitcnt lgkmcnt(0)
	v_add_f32_e32 v4, v2, v4
	v_cndmask_b32_e32 v2, v2, v4, vcc
	v_cmp_gt_u32_e32 vcc, 48, v3
	v_cndmask_b32_e64 v4, 0, 1, vcc
	v_lshlrev_b32_e32 v4, 4, v4
	v_add_lshl_u32 v4, v4, v1, 2
	ds_bpermute_b32 v4, v4, v2
	v_cmp_lt_u32_e32 vcc, v6, v5
	s_waitcnt lgkmcnt(0)
	v_add_f32_e32 v4, v2, v4
	v_cndmask_b32_e32 v2, v2, v4, vcc
	v_cmp_gt_u32_e32 vcc, 32, v3
	v_cndmask_b32_e64 v3, 0, 1, vcc
	v_lshlrev_b32_e32 v3, 5, v3
	v_add_lshl_u32 v3, v3, v1, 2
	ds_bpermute_b32 v3, v3, v2
	v_add_u32_e32 v4, 32, v1
	v_cmp_lt_u32_e32 vcc, v4, v5
	s_waitcnt lgkmcnt(0)
	v_add_f32_e32 v3, v2, v3
	v_cndmask_b32_e32 v2, v2, v3, vcc
	v_cmp_eq_u32_e32 vcc, 0, v1
	s_and_saveexec_b64 s[2:3], vcc
	s_cbranch_execz .LBB2_8
; %bb.7:
	v_lshrrev_b32_e32 v3, 4, v0
	v_and_b32_e32 v3, 60, v3
	ds_write_b32 v3, v2
.LBB2_8:
	s_or_b64 exec, exec, s[2:3]
	v_cmp_gt_u32_e32 vcc, 16, v0
	s_waitcnt lgkmcnt(0)
	s_barrier
	s_and_saveexec_b64 s[6:7], vcc
	s_cbranch_execz .LBB2_10
; %bb.9:
	v_lshlrev_b32_e32 v2, 2, v1
	ds_read_b32 v2, v2
	v_and_b32_e32 v3, 15, v1
	v_cmp_ne_u32_e32 vcc, 15, v3
	v_addc_co_u32_e32 v4, vcc, 0, v1, vcc
	v_lshlrev_b32_e32 v4, 2, v4
	s_waitcnt lgkmcnt(0)
	ds_bpermute_b32 v4, v4, v2
	v_add_u32_e32 v5, 63, v30
	v_lshrrev_b32_e32 v5, 6, v5
	v_add_u32_e32 v6, 1, v3
	v_cmp_gt_u32_e64 s[2:3], 14, v3
	v_cmp_lt_u32_e32 vcc, v6, v5
	v_cndmask_b32_e64 v6, 0, 1, s[2:3]
	s_waitcnt lgkmcnt(0)
	v_add_f32_e32 v4, v2, v4
	v_lshlrev_b32_e32 v6, 1, v6
	v_cndmask_b32_e32 v4, v2, v4, vcc
	v_add_lshl_u32 v6, v6, v1, 2
	ds_bpermute_b32 v6, v6, v4
	v_add_u32_e32 v7, 2, v3
	v_cmp_lt_u32_e64 s[2:3], v7, v5
	v_add_u32_e32 v7, 4, v3
	s_waitcnt lgkmcnt(0)
	v_add_f32_e32 v6, v4, v6
	v_cndmask_b32_e64 v4, v4, v6, s[2:3]
	v_cmp_gt_u32_e64 s[2:3], 12, v3
	v_cndmask_b32_e64 v6, 0, 1, s[2:3]
	v_lshlrev_b32_e32 v6, 2, v6
	v_add_lshl_u32 v6, v6, v1, 2
	ds_bpermute_b32 v6, v6, v4
	v_cmp_lt_u32_e64 s[2:3], v7, v5
	s_waitcnt lgkmcnt(0)
	v_add_f32_e32 v6, v4, v6
	v_cndmask_b32_e64 v4, v4, v6, s[2:3]
	v_cmp_gt_u32_e64 s[2:3], 8, v3
	v_cndmask_b32_e64 v6, 0, 1, s[2:3]
	v_lshlrev_b32_e32 v6, 3, v6
	v_add_lshl_u32 v1, v6, v1, 2
	ds_bpermute_b32 v1, v1, v4
	v_add_u32_e32 v3, 8, v3
	v_cmp_lt_u32_e64 s[2:3], v3, v5
	s_waitcnt lgkmcnt(0)
	v_add_f32_e32 v1, v4, v1
	v_cndmask_b32_e64 v1, v4, v1, s[2:3]
	v_cndmask_b32_e32 v2, v2, v1, vcc
.LBB2_10:
	s_or_b64 exec, exec, s[6:7]
	v_cmp_eq_u32_e32 vcc, 0, v0
	s_and_saveexec_b64 s[2:3], vcc
	s_cbranch_execz .LBB2_12
; %bb.11:
	v_cvt_f32_i32_e32 v1, s24
	s_load_dword s6, s[4:5], 0x18
	v_div_scale_f32 v3, s[4:5], v1, v1, v2
	v_rcp_f32_e32 v4, v3
	v_div_scale_f32 v5, vcc, v2, v1, v2
	s_mov_b32 s4, 0x800000
	v_fma_f32 v6, -v3, v4, 1.0
	v_fmac_f32_e32 v4, v6, v4
	v_mul_f32_e32 v6, v5, v4
	v_fma_f32 v7, -v3, v6, v5
	v_fmac_f32_e32 v6, v7, v4
	v_fma_f32 v3, -v3, v6, v5
	v_div_fmas_f32 v3, v3, v4, v6
	v_div_fixup_f32 v1, v3, v1, v2
	s_waitcnt lgkmcnt(0)
	v_add_f32_e32 v1, s6, v1
	v_mul_f32_e32 v2, 0x4b800000, v1
	v_cmp_gt_f32_e32 vcc, s4, v1
	v_cndmask_b32_e32 v1, v1, v2, vcc
	v_rsq_f32_e32 v1, v1
	v_mul_f32_e32 v2, 0x45800000, v1
	v_cndmask_b32_e32 v1, v1, v2, vcc
	v_mov_b32_e32 v2, 0
	ds_write_b32 v2, v1 offset:64
.LBB2_12:
	s_or_b64 exec, exec, s[2:3]
	s_waitcnt lgkmcnt(0)
	s_barrier
	s_and_saveexec_b64 s[2:3], s[0:1]
	s_cbranch_execz .LBB2_22
; %bb.13:
	v_cvt_f32_u32_e32 v1, v30
	v_add_u32_e32 v2, v0, v30
	v_sub_u32_e32 v4, 0, v30
	v_cmp_gt_i32_e64 s[0:1], s33, v2
	v_rcp_iflag_f32_e32 v1, v1
	v_max_i32_e32 v5, s33, v2
	v_addc_co_u32_e64 v2, vcc, v0, v30, s[0:1]
	v_mul_f32_e32 v1, 0x4f7ffffe, v1
	v_cvt_u32_f32_e32 v1, v1
	v_sub_u32_e32 v2, v5, v2
	v_mov_b32_e32 v3, 0
	ds_read_b32 v6, v3 offset:64
	v_mul_lo_u32 v4, v4, v1
	v_mul_hi_u32 v4, v1, v4
	v_add_u32_e32 v1, v1, v4
	v_mul_hi_u32 v1, v2, v1
	v_mul_lo_u32 v4, v1, v30
	v_sub_u32_e32 v2, v2, v4
	v_add_u32_e32 v4, 1, v1
	v_cmp_ge_u32_e32 vcc, v2, v30
	v_cndmask_b32_e32 v1, v1, v4, vcc
	v_sub_u32_e32 v4, v2, v30
	v_cndmask_b32_e32 v2, v2, v4, vcc
	v_add_u32_e32 v4, 1, v1
	v_cmp_ge_u32_e32 vcc, v2, v30
	v_cndmask_b32_e32 v1, v1, v4, vcc
	v_addc_co_u32_e64 v31, vcc, 1, v1, s[0:1]
	v_cmp_gt_u32_e32 vcc, 14, v31
	v_cmp_lt_u32_e64 s[2:3], 13, v31
	s_and_saveexec_b64 s[40:41], s[2:3]
	s_cbranch_execz .LBB2_19
; %bb.14:
	v_add_u32_e32 v2, s46, v0
	v_addc_co_u32_e64 v4, s[0:1], 0, v1, s[0:1]
	v_not_b32_e32 v1, v2
	v_lshlrev_b64 v[8:9], 4, v[2:3]
	v_cmp_le_u32_e64 s[2:3], v4, v1
	v_mov_b32_e32 v1, s37
	v_add_co_u32_e64 v8, s[4:5], s36, v8
	v_addc_co_u32_e64 v9, s[4:5], v1, v9, s[4:5]
	v_add_co_u32_e64 v10, s[4:5], 12, v8
	v_mov_b32_e32 v5, v3
	v_addc_co_u32_e64 v11, s[4:5], 0, v9, s[4:5]
	v_lshlrev_b64 v[2:3], 4, v[4:5]
	v_add_co_u32_e64 v2, s[4:5], v8, v2
	v_addc_co_u32_e64 v3, s[4:5], v9, v3, s[4:5]
	v_add_co_u32_e64 v4, s[4:5], 12, v2
	v_addc_co_u32_e64 v5, s[4:5], 0, v3, s[4:5]
	v_cmp_ge_u64_e64 s[4:5], v[4:5], v[10:11]
	v_add_co_u32_e64 v4, s[6:7], 14, v8
	v_addc_co_u32_e64 v5, s[6:7], 0, v9, s[6:7]
	v_add_co_u32_e64 v10, s[6:7], 14, v2
	v_addc_co_u32_e64 v11, s[6:7], 0, v3, s[6:7]
	v_cmp_ge_u64_e64 s[6:7], v[10:11], v[4:5]
	v_add_co_u32_e64 v4, s[8:9], 10, v8
	v_addc_co_u32_e64 v5, s[8:9], 0, v9, s[8:9]
	v_add_co_u32_e64 v10, s[8:9], 10, v2
	v_addc_co_u32_e64 v11, s[8:9], 0, v3, s[8:9]
	v_cmp_ge_u64_e64 s[8:9], v[10:11], v[4:5]
	v_add_co_u32_e64 v4, s[10:11], 8, v8
	v_addc_co_u32_e64 v5, s[10:11], 0, v9, s[10:11]
	v_add_co_u32_e64 v10, s[10:11], 8, v2
	v_addc_co_u32_e64 v11, s[10:11], 0, v3, s[10:11]
	v_cmp_ge_u64_e64 s[10:11], v[10:11], v[4:5]
	v_add_co_u32_e64 v4, s[12:13], 6, v8
	v_addc_co_u32_e64 v5, s[12:13], 0, v9, s[12:13]
	v_add_co_u32_e64 v10, s[12:13], 6, v2
	v_addc_co_u32_e64 v11, s[12:13], 0, v3, s[12:13]
	v_cmp_ge_u64_e64 s[12:13], v[10:11], v[4:5]
	v_add_co_u32_e64 v4, s[14:15], 4, v8
	v_cmp_eq_u16_e64 s[0:1], 1, v30
	v_addc_co_u32_e64 v5, s[14:15], 0, v9, s[14:15]
	v_add_co_u32_e64 v10, s[14:15], 4, v2
	s_and_b64 s[0:1], s[0:1], s[2:3]
	v_addc_co_u32_e64 v11, s[14:15], 0, v3, s[14:15]
	s_and_b64 s[0:1], s[0:1], s[4:5]
	v_cmp_ge_u64_e64 s[14:15], v[10:11], v[4:5]
	v_add_co_u32_e64 v4, s[16:17], 2, v8
	s_and_b64 s[0:1], s[0:1], s[6:7]
	v_addc_co_u32_e64 v5, s[16:17], 0, v9, s[16:17]
	s_and_b64 s[0:1], s[0:1], s[8:9]
	v_add_co_u32_e64 v10, s[16:17], 2, v2
	s_and_b64 s[0:1], s[0:1], s[10:11]
	v_addc_co_u32_e64 v11, s[16:17], 0, v3, s[16:17]
	s_and_b64 s[0:1], s[0:1], s[12:13]
	v_cmp_ge_u64_e64 s[16:17], v[10:11], v[4:5]
	s_and_b64 s[0:1], s[0:1], s[14:15]
	v_cmp_ge_u64_e64 s[18:19], v[2:3], v[8:9]
	s_and_b64 s[0:1], s[0:1], s[16:17]
	s_and_b64 s[2:3], s[0:1], s[18:19]
	s_mov_b64 s[0:1], -1
	s_and_saveexec_b64 s[42:43], s[2:3]
	s_cbranch_execz .LBB2_18
; %bb.15:
	v_and_b32_e32 v32, -2, v31
	v_mad_u32_u24 v1, v30, 1, v0
	v_lshlrev_b32_e32 v2, 1, v30
	v_mov_b32_e32 v3, v2
	s_mov_b32 s47, s46
	s_waitcnt lgkmcnt(0)
	v_mov_b32_e32 v7, v6
	s_mov_b64 s[44:45], 0
	v_mov_b32_e32 v33, s35
	s_mov_b32 s48, 0x5040100
	s_mov_b32 s49, 0x7060302
	v_mov_b32_e32 v34, s39
	s_mov_b32 s50, 0xff000000
	s_movk_i32 s51, 0x7fff
	v_mov_b32_e32 v35, 0x7fc0
	v_mov_b32_e32 v36, s37
	;; [unrolled: 1-line block ×4, first 2 shown]
	v_pk_mov_b32 v[8:9], v[0:1], v[0:1] op_sel:[0,1]
.LBB2_16:                               ; =>This Inner Loop Header: Depth=1
	v_add_u32_e32 v4, s46, v8
	v_lshlrev_b64 v[12:13], 4, v[4:5]
	v_add_u32_e32 v10, s47, v9
	v_mov_b32_e32 v11, v5
	v_add_co_u32_e64 v22, s[2:3], s34, v12
	v_lshlrev_b64 v[14:15], 4, v[10:11]
	v_addc_co_u32_e64 v23, s[2:3], v33, v13, s[2:3]
	v_add_co_u32_e64 v24, s[2:3], s34, v14
	v_addc_co_u32_e64 v25, s[2:3], v33, v15, s[2:3]
	v_add_u32_e32 v37, -2, v37
	v_mov_b32_e32 v4, v8
	v_add_co_u32_e64 v10, s[2:3], s36, v12
	v_cmp_eq_u32_e64 s[0:1], 0, v37
	v_lshlrev_b64 v[26:27], 4, v[4:5]
	v_addc_co_u32_e64 v11, s[2:3], v36, v13, s[2:3]
	v_mov_b32_e32 v4, v9
	v_add_co_u32_e64 v12, s[2:3], s36, v14
	s_or_b64 s[44:45], s[0:1], s[44:45]
	v_add_co_u32_e64 v38, s[0:1], s38, v26
	v_addc_co_u32_e64 v13, s[2:3], v36, v15, s[2:3]
	global_load_dwordx4 v[14:17], v[22:23], off
	global_load_dwordx4 v[18:21], v[24:25], off
	v_addc_co_u32_e64 v39, s[0:1], v34, v27, s[0:1]
	v_lshlrev_b64 v[22:23], 4, v[4:5]
	v_add_co_u32_e64 v40, s[0:1], s38, v22
	v_addc_co_u32_e64 v41, s[0:1], v34, v23, s[0:1]
	global_load_dwordx4 v[22:25], v[38:39], off
	global_load_dwordx4 v[26:29], v[40:41], off
	v_add_u32_e32 v8, v8, v2
	v_add_u32_e32 v9, v9, v3
	s_waitcnt vmcnt(2)
	v_perm_b32 v1, v18, v14, s48
	v_perm_b32 v4, v18, v14, s49
	;; [unrolled: 1-line block ×8, first 2 shown]
	v_pk_lshrrev_b16 v20, 8, v1 op_sel_hi:[0,1]
	v_and_b32_e32 v1, 0xff00ff, v1
	v_pk_lshrrev_b16 v21, 8, v4 op_sel_hi:[0,1]
	v_and_b32_e32 v4, 0xff00ff, v4
	v_pk_lshrrev_b16 v38, 8, v14 op_sel_hi:[0,1]
	v_and_b32_e32 v14, 0xff00ff, v14
	v_pk_lshrrev_b16 v39, 8, v15 op_sel_hi:[0,1]
	v_and_b32_e32 v15, 0xff00ff, v15
	v_pk_lshrrev_b16 v40, 8, v18 op_sel_hi:[0,1]
	v_and_b32_e32 v18, 0xff00ff, v18
	v_pk_lshrrev_b16 v41, 8, v16 op_sel_hi:[0,1]
	v_and_b32_e32 v16, 0xff00ff, v16
	v_pk_lshrrev_b16 v42, 8, v19 op_sel_hi:[0,1]
	v_and_b32_e32 v19, 0xff00ff, v19
	v_pk_lshrrev_b16 v43, 8, v17 op_sel_hi:[0,1]
	v_and_b32_e32 v17, 0xff00ff, v17
	s_waitcnt vmcnt(0)
	v_perm_b32 v44, v26, v22, s48
	v_perm_b32 v45, v26, v22, s49
	;; [unrolled: 1-line block ×8, first 2 shown]
	v_lshlrev_b32_e32 v22, 16, v1
	v_and_b32_e32 v1, 0xffff0000, v1
	v_lshlrev_b32_e32 v23, 8, v20
	v_lshlrev_b32_e32 v24, 16, v4
	v_and_b32_e32 v4, 0xffff0000, v4
	v_lshlrev_b32_e32 v25, 8, v21
	;; [unrolled: 3-line block ×6, first 2 shown]
	v_and_b32_e32 v61, 0xffff0000, v19
	v_lshlrev_b32_e32 v62, 8, v42
	v_lshlrev_b32_e32 v60, 16, v19
	;; [unrolled: 1-line block ×3, first 2 shown]
	v_and_b32_e32 v64, 0xffff0000, v17
	v_lshlrev_b32_e32 v65, 8, v43
	v_and_or_b32 v15, v23, s50, v1
	v_lshl_or_b32 v14, v20, 24, v22
	v_and_or_b32 v17, v25, s50, v4
	v_lshl_or_b32 v16, v21, 24, v24
	;; [unrolled: 2-line block ×6, first 2 shown]
	v_and_or_b32 v27, v62, s50, v61
	v_pk_lshrrev_b16 v1, 8, v44 op_sel_hi:[0,1]
	v_and_b32_e32 v4, 0xff00ff, v44
	v_pk_lshrrev_b16 v54, 8, v45 op_sel_hi:[0,1]
	v_and_b32_e32 v55, 0xff00ff, v45
	v_and_b32_e32 v57, 0xff00ff, v46
	;; [unrolled: 1-line block ×4, first 2 shown]
	v_lshl_or_b32 v26, v42, 24, v60
	v_and_or_b32 v29, v65, s50, v64
	v_lshl_or_b32 v28, v43, 24, v63
	v_pk_lshrrev_b16 v56, 8, v46 op_sel_hi:[0,1]
	v_pk_lshrrev_b16 v58, 8, v47 op_sel_hi:[0,1]
	;; [unrolled: 1-line block ×4, first 2 shown]
	v_and_b32_e32 v63, 0xff00ff, v49
	v_pk_lshrrev_b16 v64, 8, v50 op_sel_hi:[0,1]
	v_and_b32_e32 v65, 0xff00ff, v50
	v_pk_lshrrev_b16 v66, 8, v51 op_sel_hi:[0,1]
	v_and_b32_e32 v67, 0xff00ff, v51
	v_pk_mul_f32 v[38:39], v[6:7], v[14:15]
	v_pk_mul_f32 v[40:41], v[6:7], v[16:17]
	;; [unrolled: 1-line block ×6, first 2 shown]
	v_lshlrev_b32_e32 v14, 16, v4
	v_and_b32_e32 v4, 0xffff0000, v4
	v_lshlrev_b32_e32 v15, 8, v1
	v_lshlrev_b32_e32 v16, 16, v55
	v_and_b32_e32 v17, 0xffff0000, v55
	v_lshlrev_b32_e32 v18, 8, v54
	v_lshlrev_b32_e32 v20, 16, v57
	;; [unrolled: 1-line block ×4, first 2 shown]
	v_pk_mul_f32 v[50:51], v[6:7], v[26:27]
	v_pk_mul_f32 v[52:53], v[6:7], v[28:29]
	v_and_b32_e32 v19, 0xffff0000, v57
	v_lshlrev_b32_e32 v21, 8, v56
	v_and_b32_e32 v23, 0xffff0000, v59
	v_lshlrev_b32_e32 v24, 8, v58
	v_and_b32_e32 v26, 0xffff0000, v61
	v_and_or_b32 v15, v15, s50, v4
	v_lshl_or_b32 v14, v1, 24, v14
	v_lshlrev_b32_e32 v1, 8, v60
	v_lshlrev_b32_e32 v4, 16, v63
	v_and_b32_e32 v27, 0xffff0000, v63
	v_and_or_b32 v17, v18, s50, v17
	v_lshl_or_b32 v16, v54, 24, v16
	v_lshlrev_b32_e32 v28, 8, v62
	v_lshlrev_b32_e32 v29, 16, v65
	v_and_b32_e32 v54, 0xffff0000, v65
	v_lshl_or_b32 v18, v56, 24, v20
	v_lshlrev_b32_e32 v55, 8, v64
	v_lshlrev_b32_e32 v56, 16, v67
	v_and_b32_e32 v57, 0xffff0000, v67
	v_lshl_or_b32 v20, v58, 24, v22
	v_lshlrev_b32_e32 v58, 8, v66
	v_lshl_or_b32 v22, v60, 24, v25
	v_bfe_u32 v60, v40, 16, 1
	v_and_or_b32 v19, v21, s50, v19
	v_and_or_b32 v21, v24, s50, v23
	v_bfe_u32 v59, v38, 16, 1
	v_and_or_b32 v23, v1, s50, v26
	v_bfe_u32 v1, v39, 16, 1
	v_and_or_b32 v25, v28, s50, v27
	v_lshl_or_b32 v24, v62, 24, v4
	v_bfe_u32 v4, v41, 16, 1
	v_bfe_u32 v61, v42, 16, 1
	v_and_or_b32 v27, v55, s50, v54
	v_lshl_or_b32 v26, v64, 24, v29
	v_bfe_u32 v54, v43, 16, 1
	;; [unrolled: 4-line block ×3, first 2 shown]
	v_bfe_u32 v57, v46, 16, 1
	v_add3_u32 v58, v40, v60, s51
	v_cmp_o_f32_e64 s[0:1], v40, v40
	v_bfe_u32 v40, v47, 16, 1
	v_add3_u32 v4, v41, v4, s51
	v_cmp_o_f32_e64 s[2:3], v41, v41
	v_bfe_u32 v41, v48, 16, 1
	v_add3_u32 v54, v43, v54, s51
	v_add3_u32 v60, v42, v61, s51
	v_cmp_o_f32_e64 s[4:5], v42, v42
	v_cmp_o_f32_e64 s[6:7], v43, v43
	v_bfe_u32 v42, v49, 16, 1
	v_bfe_u32 v43, v50, 16, 1
	v_add3_u32 v56, v45, v56, s51
	v_add3_u32 v55, v44, v55, s51
	v_cmp_o_f32_e64 s[8:9], v44, v44
	v_cmp_o_f32_e64 s[10:11], v45, v45
	v_bfe_u32 v44, v51, 16, 1
	;; [unrolled: 6-line block ×3, first 2 shown]
	v_add3_u32 v1, v39, v1, s51
	v_add3_u32 v47, v38, v59, s51
	v_lshrrev_b32_e32 v58, 16, v58
	v_lshrrev_b32_e32 v4, 16, v4
	;; [unrolled: 1-line block ×4, first 2 shown]
	v_add3_u32 v42, v49, v42, s51
	v_add3_u32 v41, v48, v41, s51
	v_add3_u32 v44, v51, v44, s51
	v_add3_u32 v43, v50, v43, s51
	v_add3_u32 v46, v53, v46, s51
	v_add3_u32 v45, v52, v45, s51
	v_lshrrev_b32_e32 v47, 16, v47
	v_lshrrev_b32_e32 v1, 16, v1
	v_cmp_o_f32_e64 s[16:17], v39, v39
	v_cmp_o_f32_e64 s[30:31], v38, v38
	v_lshrrev_b32_e32 v55, 16, v55
	v_lshrrev_b32_e32 v56, 16, v56
	;; [unrolled: 1-line block ×6, first 2 shown]
	v_cmp_o_f32_e64 s[18:19], v48, v48
	v_cmp_o_f32_e64 s[20:21], v49, v49
	v_lshrrev_b32_e32 v42, 16, v43
	v_lshrrev_b32_e32 v43, 16, v44
	v_cmp_o_f32_e64 s[22:23], v50, v50
	v_cmp_o_f32_e64 s[24:25], v51, v51
	v_lshrrev_b32_e32 v44, 16, v45
	v_lshrrev_b32_e32 v45, 16, v46
	v_cmp_o_f32_e64 s[26:27], v52, v52
	v_cmp_o_f32_e64 s[28:29], v53, v53
	v_cndmask_b32_e64 v38, v35, v47, s[30:31]
	v_cndmask_b32_e64 v1, v35, v1, s[16:17]
	;; [unrolled: 1-line block ×16, first 2 shown]
	v_perm_b32 v1, v1, v38, s48
	v_perm_b32 v4, v4, v46, s48
	;; [unrolled: 1-line block ×8, first 2 shown]
	v_pk_lshrrev_b16 v43, 8, v1 op_sel_hi:[0,1]
	v_and_b32_e32 v1, 0xff00ff, v1
	v_pk_lshrrev_b16 v44, 8, v4 op_sel_hi:[0,1]
	v_and_b32_e32 v4, 0xff00ff, v4
	;; [unrolled: 2-line block ×8, first 2 shown]
	v_lshlrev_b32_e32 v41, 16, v1
	v_and_b32_e32 v1, 0xffff0000, v1
	v_lshlrev_b32_e32 v39, 8, v43
	v_lshlrev_b32_e32 v42, 16, v4
	v_and_b32_e32 v4, 0xffff0000, v4
	v_lshlrev_b32_e32 v55, 8, v44
	;; [unrolled: 3-line block ×4, first 2 shown]
	v_lshlrev_b32_e32 v61, 16, v40
	v_and_b32_e32 v62, 0xffff0000, v40
	v_and_or_b32 v39, v39, s50, v1
	v_lshl_or_b32 v38, v43, 24, v41
	v_lshlrev_b32_e32 v1, 8, v48
	v_lshlrev_b32_e32 v63, 16, v49
	v_and_b32_e32 v49, 0xffff0000, v49
	v_and_or_b32 v41, v55, s50, v4
	v_lshl_or_b32 v40, v44, 24, v42
	v_lshlrev_b32_e32 v4, 8, v50
	;; [unrolled: 5-line block ×3, first 2 shown]
	v_lshlrev_b32_e32 v57, 16, v53
	v_and_b32_e32 v53, 0xffff0000, v53
	v_lshlrev_b32_e32 v58, 8, v54
	v_and_or_b32 v45, v60, s50, v46
	v_lshl_or_b32 v44, v47, 24, v59
	v_and_or_b32 v47, v1, s50, v62
	v_lshl_or_b32 v46, v48, 24, v61
	;; [unrolled: 2-line block ×5, first 2 shown]
	v_pk_mul_f32 v[14:15], v[14:15], v[38:39]
	v_pk_mul_f32 v[16:17], v[16:17], v[40:41]
	;; [unrolled: 1-line block ×8, first 2 shown]
	v_bfe_u32 v4, v14, 16, 1
	v_bfe_u32 v38, v17, 16, 1
	;; [unrolled: 1-line block ×16, first 2 shown]
	v_add3_u32 v4, v14, v4, s51
	v_add3_u32 v39, v16, v39, s51
	;; [unrolled: 1-line block ×16, first 2 shown]
	v_lshrrev_b32_e32 v4, 16, v4
	v_cmp_o_f32_e64 s[0:1], v14, v14
	v_lshrrev_b32_e32 v14, 16, v38
	v_lshrrev_b32_e32 v38, 16, v39
	v_cmp_o_f32_e64 s[2:3], v17, v17
	v_cmp_o_f32_e64 s[4:5], v16, v16
	v_lshrrev_b32_e32 v16, 16, v40
	v_lshrrev_b32_e32 v17, 16, v41
	v_cmp_o_f32_e64 s[6:7], v19, v19
	v_cmp_o_f32_e64 s[8:9], v18, v18
	v_lshrrev_b32_e32 v19, 16, v43
	v_cmp_o_f32_e64 s[10:11], v21, v21
	v_cmp_o_f32_e64 s[12:13], v20, v20
	v_lshrrev_b32_e32 v20, 16, v44
	v_lshrrev_b32_e32 v21, 16, v45
	v_cmp_o_f32_e64 s[14:15], v23, v23
	v_cmp_o_f32_e64 s[16:17], v22, v22
	v_lshrrev_b32_e32 v23, 16, v47
	v_cmp_o_f32_e64 s[18:19], v25, v25
	v_cmp_o_f32_e64 s[20:21], v24, v24
	;; [unrolled: 3-line block ×3, first 2 shown]
	v_lshrrev_b32_e32 v27, 16, v51
	v_cmp_o_f32_e64 s[28:29], v28, v28
	v_lshrrev_b32_e32 v1, 16, v1
	v_lshrrev_b32_e32 v18, 16, v42
	;; [unrolled: 1-line block ×5, first 2 shown]
	v_cmp_o_f32_e64 s[26:27], v29, v29
	v_cmp_o_f32_e64 s[30:31], v15, v15
	v_cndmask_b32_e64 v4, v35, v4, s[0:1]
	v_cndmask_b32_e64 v28, v35, v14, s[2:3]
	;; [unrolled: 1-line block ×16, first 2 shown]
	v_perm_b32 v15, v16, v15, s48
	v_perm_b32 v14, v14, v4, s48
	;; [unrolled: 1-line block ×8, first 2 shown]
	global_store_dwordx4 v[10:11], v[14:17], off
	global_store_dwordx4 v[12:13], v[18:21], off
	s_andn2_b64 exec, exec, s[44:45]
	s_cbranch_execnz .LBB2_16
; %bb.17:
	s_or_b64 exec, exec, s[44:45]
	v_mad_u64_u32 v[0:1], s[0:1], v32, v30, v[0:1]
	v_cmp_ne_u32_e64 s[0:1], v31, v32
	s_orn2_b64 s[0:1], s[0:1], exec
.LBB2_18:
	s_or_b64 exec, exec, s[42:43]
	s_andn2_b64 s[2:3], vcc, exec
	s_and_b64 s[0:1], s[0:1], exec
	s_or_b64 vcc, s[2:3], s[0:1]
.LBB2_19:
	s_or_b64 exec, exec, s[40:41]
	s_and_b64 exec, exec, vcc
	s_cbranch_execz .LBB2_22
; %bb.20:
	v_mov_b32_e32 v9, 0
	v_mov_b32_e32 v1, v9
	v_lshlrev_b64 v[2:3], 4, v[0:1]
	v_mov_b32_e32 v1, s39
	v_add_co_u32_e32 v2, vcc, s38, v2
	v_addc_co_u32_e32 v1, vcc, v3, v1, vcc
	v_add_co_u32_e32 v10, vcc, 8, v2
	s_waitcnt lgkmcnt(0)
	v_mov_b32_e32 v7, v6
	v_addc_co_u32_e32 v11, vcc, 0, v1, vcc
	v_lshlrev_b32_e32 v12, 4, v30
	s_mov_b64 s[14:15], 0
	v_mov_b32_e32 v1, s35
	s_movk_i32 s16, 0xff
	v_mov_b32_e32 v13, s37
	v_mov_b32_e32 v14, v6
	v_mov_b32_e32 v15, v6
	s_movk_i32 s17, 0x7fff
	v_mov_b32_e32 v18, 0x7fc0
	s_mov_b32 s18, 0x5040100
	s_mov_b32 s19, 0x800ff
	;; [unrolled: 1-line block ×3, first 2 shown]
.LBB2_21:                               ; =>This Inner Loop Header: Depth=1
	v_add_u32_e32 v8, s46, v0
	v_lshlrev_b64 v[16:17], 4, v[8:9]
	global_load_dwordx4 v[2:5], v[10:11], off offset:-8
	v_add_co_u32_e64 v20, s[0:1], s34, v16
	v_addc_co_u32_e64 v21, s[0:1], v1, v17, s[0:1]
	global_load_dwordx4 v[20:23], v[20:21], off
	v_add_co_u32_e32 v10, vcc, v10, v12
	v_add_u32_e32 v0, v0, v30
	v_addc_co_u32_e32 v11, vcc, 0, v11, vcc
	v_add_co_u32_e64 v16, s[0:1], s36, v16
	v_cmp_le_i32_e32 vcc, s33, v0
	v_addc_co_u32_e64 v17, s[0:1], v13, v17, s[0:1]
	s_or_b64 s[14:15], vcc, s[14:15]
	s_waitcnt vmcnt(1)
	v_and_b32_e32 v8, 0xff, v3
	v_and_b32_e32 v19, 0xff, v2
	v_pk_lshrrev_b16 v24, s19, v2
	v_pk_lshrrev_b16 v25, s19, v3
	;; [unrolled: 1-line block ×4, first 2 shown]
	v_and_b32_sdwa v3, v3, s16 dst_sel:DWORD dst_unused:UNUSED_PAD src0_sel:WORD_1 src1_sel:DWORD
	v_and_b32_sdwa v2, v2, s16 dst_sel:DWORD dst_unused:UNUSED_PAD src0_sel:WORD_1 src1_sel:DWORD
	v_and_b32_e32 v28, 0xff, v5
	v_and_b32_e32 v29, 0xff, v4
	v_pk_lshrrev_b16 v31, s19, v4
	v_pk_lshrrev_b16 v32, s19, v5
	;; [unrolled: 1-line block ×4, first 2 shown]
	v_and_b32_sdwa v5, v5, s16 dst_sel:DWORD dst_unused:UNUSED_PAD src0_sel:WORD_1 src1_sel:DWORD
	v_and_b32_sdwa v4, v4, s16 dst_sel:DWORD dst_unused:UNUSED_PAD src0_sel:WORD_1 src1_sel:DWORD
	v_lshlrev_b32_e32 v35, 16, v2
	v_lshlrev_b32_e32 v3, 16, v3
	;; [unrolled: 1-line block ×8, first 2 shown]
	v_lshl_or_b32 v2, v27, 24, v2
	v_lshl_or_b32 v3, v25, 8, v3
	v_lshl_or_b32 v4, v26, 24, v19
	v_lshl_or_b32 v5, v24, 8, v35
	v_lshl_or_b32 v24, v34, 24, v28
	v_lshl_or_b32 v25, v32, 8, v36
	v_lshl_or_b32 v26, v33, 24, v29
	v_lshl_or_b32 v27, v31, 8, v8
	s_waitcnt vmcnt(0)
	v_lshrrev_b16_e32 v8, 8, v20
	v_and_b32_e32 v19, 0xff, v20
	v_and_b32_e32 v29, 0xffff0000, v20
	v_lshrrev_b16_e32 v20, 8, v21
	v_lshrrev_b16_e32 v28, 8, v22
	v_and_b32_e32 v32, 0xff, v22
	v_and_b32_e32 v33, 0xffff0000, v22
	v_lshrrev_b16_e32 v22, 8, v23
	v_and_b32_e32 v31, 0xff, v21
	v_and_b32_e32 v34, 0xff, v23
	v_lshlrev_b32_e32 v8, 24, v8
	v_lshlrev_b32_e32 v20, 24, v20
	;; [unrolled: 1-line block ×4, first 2 shown]
	v_and_b32_e32 v21, 0xffff0000, v21
	v_and_b32_e32 v23, 0xffff0000, v23
	v_lshl_or_b32 v28, v19, 16, v8
	v_lshl_or_b32 v20, v31, 16, v20
	;; [unrolled: 1-line block ×4, first 2 shown]
	v_pk_mul_f32 v[28:29], v[6:7], v[28:29]
	v_pk_mul_f32 v[20:21], v[14:15], v[20:21]
	;; [unrolled: 1-line block ×4, first 2 shown]
	v_bfe_u32 v8, v20, 16, 1
	v_bfe_u32 v19, v21, 16, 1
	;; [unrolled: 1-line block ×8, first 2 shown]
	v_add3_u32 v19, v21, v19, s17
	v_add3_u32 v8, v20, v8, s17
	;; [unrolled: 1-line block ×8, first 2 shown]
	v_lshrrev_b32_e32 v31, 16, v31
	v_lshrrev_b32_e32 v34, 16, v34
	;; [unrolled: 1-line block ×4, first 2 shown]
	v_cmp_o_f32_e32 vcc, v29, v29
	v_cmp_o_f32_e64 s[0:1], v28, v28
	v_cmp_o_f32_e64 s[2:3], v20, v20
	v_lshrrev_b32_e32 v20, 16, v37
	v_lshrrev_b32_e32 v28, 16, v38
	;; [unrolled: 1-line block ×4, first 2 shown]
	v_cmp_o_f32_e64 s[4:5], v23, v23
	v_cmp_o_f32_e64 s[6:7], v33, v33
	v_cmp_o_f32_e64 s[8:9], v32, v32
	v_cmp_o_f32_e64 s[10:11], v22, v22
	v_cmp_o_f32_e64 s[12:13], v21, v21
	v_cndmask_b32_e64 v19, v18, v19, s[12:13]
	v_cndmask_b32_e32 v21, v18, v31, vcc
	v_cndmask_b32_e64 v22, v18, v34, s[0:1]
	v_cndmask_b32_e64 v8, v18, v8, s[2:3]
	;; [unrolled: 1-line block ×6, first 2 shown]
	v_and_b32_e32 v31, 0xff, v8
	v_and_b32_e32 v32, 0xff, v22
	v_perm_b32 v22, v21, v22, s18
	v_perm_b32 v8, v19, v8, s18
	v_and_b32_e32 v19, 0xff, v19
	v_and_b32_e32 v21, 0xff, v21
	;; [unrolled: 1-line block ×4, first 2 shown]
	v_perm_b32 v28, v20, v28, s18
	v_perm_b32 v29, v23, v29, s18
	v_and_b32_e32 v23, 0xff, v23
	v_and_b32_e32 v20, 0xff, v20
	v_pk_lshrrev_b16 v35, s19, v22
	v_pk_lshrrev_b16 v36, s19, v8
	;; [unrolled: 1-line block ×4, first 2 shown]
	v_lshlrev_b32_e32 v37, 16, v21
	v_lshlrev_b32_e32 v19, 16, v19
	v_lshlrev_b32_e32 v32, 16, v32
	v_lshlrev_b32_e32 v31, 16, v31
	v_pk_lshrrev_b16 v38, s19, v28
	v_pk_lshrrev_b16 v39, s19, v29
	;; [unrolled: 1-line block ×4, first 2 shown]
	v_lshlrev_b32_e32 v41, 16, v20
	v_lshlrev_b32_e32 v29, 16, v23
	;; [unrolled: 1-line block ×4, first 2 shown]
	v_lshl_or_b32 v21, v36, 8, v19
	v_lshl_or_b32 v20, v8, 24, v31
	;; [unrolled: 1-line block ×8, first 2 shown]
	v_pk_mul_f32 v[4:5], v[4:5], v[22:23]
	v_pk_mul_f32 v[2:3], v[2:3], v[20:21]
	;; [unrolled: 1-line block ×4, first 2 shown]
	v_bfe_u32 v8, v4, 16, 1
	v_bfe_u32 v19, v5, 16, 1
	;; [unrolled: 1-line block ×8, first 2 shown]
	v_add3_u32 v25, v3, v25, s17
	v_add3_u32 v24, v2, v24, s17
	;; [unrolled: 1-line block ×8, first 2 shown]
	v_lshrrev_b32_e32 v8, 16, v8
	v_lshrrev_b32_e32 v19, 16, v19
	;; [unrolled: 1-line block ×4, first 2 shown]
	v_cmp_o_f32_e32 vcc, v5, v5
	v_cmp_o_f32_e64 s[0:1], v2, v2
	v_cmp_o_f32_e64 s[2:3], v3, v3
	v_lshrrev_b32_e32 v2, 16, v26
	v_lshrrev_b32_e32 v3, 16, v27
	;; [unrolled: 1-line block ×4, first 2 shown]
	v_cmp_o_f32_e64 s[4:5], v20, v20
	v_cmp_o_f32_e64 s[6:7], v21, v21
	;; [unrolled: 1-line block ×5, first 2 shown]
	v_cndmask_b32_e64 v8, v18, v8, s[12:13]
	v_cndmask_b32_e32 v19, v18, v19, vcc
	v_cndmask_b32_e64 v20, v18, v24, s[0:1]
	v_cndmask_b32_e64 v21, v18, v25, s[2:3]
	;; [unrolled: 1-line block ×6, first 2 shown]
	v_perm_b32 v5, v5, v4, s18
	v_perm_b32 v4, v3, v2, s18
	;; [unrolled: 1-line block ×4, first 2 shown]
	global_store_dwordx4 v[16:17], v[2:5], off
	s_andn2_b64 exec, exec, s[14:15]
	s_cbranch_execnz .LBB2_21
.LBB2_22:
	s_endpgm
	.section	.rodata,"a",@progbits
	.p2align	6, 0x0
	.amdhsa_kernel _ZN4vllm15rms_norm_kernelIN3c108BFloat16EEEvPT_PKS3_S6_fii
		.amdhsa_group_segment_fixed_size 68
		.amdhsa_private_segment_fixed_size 0
		.amdhsa_kernarg_size 296
		.amdhsa_user_sgpr_count 6
		.amdhsa_user_sgpr_private_segment_buffer 1
		.amdhsa_user_sgpr_dispatch_ptr 0
		.amdhsa_user_sgpr_queue_ptr 0
		.amdhsa_user_sgpr_kernarg_segment_ptr 1
		.amdhsa_user_sgpr_dispatch_id 0
		.amdhsa_user_sgpr_flat_scratch_init 0
		.amdhsa_user_sgpr_kernarg_preload_length 0
		.amdhsa_user_sgpr_kernarg_preload_offset 0
		.amdhsa_user_sgpr_private_segment_size 0
		.amdhsa_uses_dynamic_stack 0
		.amdhsa_system_sgpr_private_segment_wavefront_offset 0
		.amdhsa_system_sgpr_workgroup_id_x 1
		.amdhsa_system_sgpr_workgroup_id_y 0
		.amdhsa_system_sgpr_workgroup_id_z 0
		.amdhsa_system_sgpr_workgroup_info 0
		.amdhsa_system_vgpr_workitem_id 0
		.amdhsa_next_free_vgpr 68
		.amdhsa_next_free_sgpr 52
		.amdhsa_accum_offset 68
		.amdhsa_reserve_vcc 1
		.amdhsa_reserve_flat_scratch 0
		.amdhsa_float_round_mode_32 0
		.amdhsa_float_round_mode_16_64 0
		.amdhsa_float_denorm_mode_32 3
		.amdhsa_float_denorm_mode_16_64 3
		.amdhsa_dx10_clamp 1
		.amdhsa_ieee_mode 1
		.amdhsa_fp16_overflow 0
		.amdhsa_tg_split 0
		.amdhsa_exception_fp_ieee_invalid_op 0
		.amdhsa_exception_fp_denorm_src 0
		.amdhsa_exception_fp_ieee_div_zero 0
		.amdhsa_exception_fp_ieee_overflow 0
		.amdhsa_exception_fp_ieee_underflow 0
		.amdhsa_exception_fp_ieee_inexact 0
		.amdhsa_exception_int_div_zero 0
	.end_amdhsa_kernel
	.section	.text._ZN4vllm15rms_norm_kernelIN3c108BFloat16EEEvPT_PKS3_S6_fii,"axG",@progbits,_ZN4vllm15rms_norm_kernelIN3c108BFloat16EEEvPT_PKS3_S6_fii,comdat
.Lfunc_end2:
	.size	_ZN4vllm15rms_norm_kernelIN3c108BFloat16EEEvPT_PKS3_S6_fii, .Lfunc_end2-_ZN4vllm15rms_norm_kernelIN3c108BFloat16EEEvPT_PKS3_S6_fii
                                        ; -- End function
	.section	.AMDGPU.csdata,"",@progbits
; Kernel info:
; codeLenInByte = 8160
; NumSgprs: 56
; NumVgprs: 68
; NumAgprs: 0
; TotalNumVgprs: 68
; ScratchSize: 0
; MemoryBound: 0
; FloatMode: 240
; IeeeMode: 1
; LDSByteSize: 68 bytes/workgroup (compile time only)
; SGPRBlocks: 6
; VGPRBlocks: 8
; NumSGPRsForWavesPerEU: 56
; NumVGPRsForWavesPerEU: 68
; AccumOffset: 68
; Occupancy: 7
; WaveLimiterHint : 0
; COMPUTE_PGM_RSRC2:SCRATCH_EN: 0
; COMPUTE_PGM_RSRC2:USER_SGPR: 6
; COMPUTE_PGM_RSRC2:TRAP_HANDLER: 0
; COMPUTE_PGM_RSRC2:TGID_X_EN: 1
; COMPUTE_PGM_RSRC2:TGID_Y_EN: 0
; COMPUTE_PGM_RSRC2:TGID_Z_EN: 0
; COMPUTE_PGM_RSRC2:TIDIG_COMP_CNT: 0
; COMPUTE_PGM_RSRC3_GFX90A:ACCUM_OFFSET: 16
; COMPUTE_PGM_RSRC3_GFX90A:TG_SPLIT: 0
	.section	.text._ZN4vllm25fused_add_rms_norm_kernelIfLi8EEENSt9enable_ifIXooeqT0_Li0Entsr12_typeConvertIT_EE6existsEvE4typeEPS2_S5_PKS2_fii,"axG",@progbits,_ZN4vllm25fused_add_rms_norm_kernelIfLi8EEENSt9enable_ifIXooeqT0_Li0Entsr12_typeConvertIT_EE6existsEvE4typeEPS2_S5_PKS2_fii,comdat
	.protected	_ZN4vllm25fused_add_rms_norm_kernelIfLi8EEENSt9enable_ifIXooeqT0_Li0Entsr12_typeConvertIT_EE6existsEvE4typeEPS2_S5_PKS2_fii ; -- Begin function _ZN4vllm25fused_add_rms_norm_kernelIfLi8EEENSt9enable_ifIXooeqT0_Li0Entsr12_typeConvertIT_EE6existsEvE4typeEPS2_S5_PKS2_fii
	.globl	_ZN4vllm25fused_add_rms_norm_kernelIfLi8EEENSt9enable_ifIXooeqT0_Li0Entsr12_typeConvertIT_EE6existsEvE4typeEPS2_S5_PKS2_fii
	.p2align	8
	.type	_ZN4vllm25fused_add_rms_norm_kernelIfLi8EEENSt9enable_ifIXooeqT0_Li0Entsr12_typeConvertIT_EE6existsEvE4typeEPS2_S5_PKS2_fii,@function
_ZN4vllm25fused_add_rms_norm_kernelIfLi8EEENSt9enable_ifIXooeqT0_Li0Entsr12_typeConvertIT_EE6existsEvE4typeEPS2_S5_PKS2_fii: ; @_ZN4vllm25fused_add_rms_norm_kernelIfLi8EEENSt9enable_ifIXooeqT0_Li0Entsr12_typeConvertIT_EE6existsEvE4typeEPS2_S5_PKS2_fii
; %bb.0:
	s_load_dword s14, s[4:5], 0x20
	s_load_dwordx4 s[8:11], s[4:5], 0x0
                                        ; implicit-def: $sgpr15
                                        ; implicit-def: $sgpr7
	s_waitcnt lgkmcnt(0)
	v_cmp_gt_i32_e64 s[0:1], s14, v0
	v_cmp_le_i32_e32 vcc, s14, v0
	s_and_saveexec_b64 s[2:3], vcc
	s_xor_b64 s[2:3], exec, s[2:3]
	s_cbranch_execz .LBB3_2
; %bb.1:
	s_load_dword s7, s[4:5], 0x34
	s_mov_b32 s15, 0
	s_waitcnt lgkmcnt(0)
	s_and_b32 s7, s7, 0xffff
.LBB3_2:
	s_or_saveexec_b64 s[2:3], s[2:3]
	s_load_dwordx2 s[12:13], s[4:5], 0x10
	v_mov_b32_e32 v5, s15
	v_mov_b32_e32 v4, s7
	s_mul_i32 s15, s6, s14
	s_xor_b64 exec, exec, s[2:3]
	s_cbranch_execz .LBB3_6
; %bb.3:
	s_load_dword s16, s[4:5], 0x34
	s_mov_b64 s[6:7], 0
	v_mov_b32_e32 v3, 0
	v_mov_b32_e32 v1, s9
	;; [unrolled: 1-line block ×3, first 2 shown]
	s_waitcnt lgkmcnt(0)
	s_and_b32 s16, s16, 0xffff
	v_mov_b32_e32 v5, 0
	v_mov_b32_e32 v6, v0
.LBB3_4:                                ; =>This Inner Loop Header: Depth=1
	v_add_u32_e32 v2, s15, v6
	v_lshlrev_b64 v[8:9], 2, v[2:3]
	v_add_co_u32_e32 v10, vcc, s8, v8
	v_addc_co_u32_e32 v11, vcc, v1, v9, vcc
	v_add_co_u32_e32 v8, vcc, s10, v8
	v_addc_co_u32_e32 v9, vcc, v4, v9, vcc
	global_load_dword v2, v[10:11], off
	global_load_dword v7, v[8:9], off
	v_add_u32_e32 v6, s16, v6
	v_cmp_le_i32_e32 vcc, s14, v6
	s_or_b64 s[6:7], vcc, s[6:7]
	s_waitcnt vmcnt(0)
	v_add_f32_e32 v2, v2, v7
	v_fmac_f32_e32 v5, v2, v2
	global_store_dword v[8:9], v2, off
	s_andn2_b64 exec, exec, s[6:7]
	s_cbranch_execnz .LBB3_4
; %bb.5:
	s_or_b64 exec, exec, s[6:7]
	v_mov_b32_e32 v4, s16
.LBB3_6:
	s_or_b64 exec, exec, s[2:3]
	v_mbcnt_lo_u32_b32 v1, -1, 0
	v_mbcnt_hi_u32_b32 v1, -1, v1
	v_and_b32_e32 v2, 63, v1
	v_cmp_ne_u32_e32 vcc, 63, v2
	v_addc_co_u32_e32 v3, vcc, 0, v1, vcc
	v_lshlrev_b32_e32 v3, 2, v3
	ds_bpermute_b32 v3, v3, v5
	v_and_b32_e32 v6, 0x3c0, v0
	v_sub_u32_e64 v6, v4, v6 clamp
	v_add_u32_e32 v7, 1, v1
	v_cmp_lt_u32_e32 vcc, v7, v6
	s_waitcnt lgkmcnt(0)
	v_add_f32_e32 v3, v5, v3
	v_cndmask_b32_e32 v3, v5, v3, vcc
	v_cmp_gt_u32_e32 vcc, 62, v2
	v_cndmask_b32_e64 v5, 0, 1, vcc
	v_lshlrev_b32_e32 v5, 1, v5
	v_add_lshl_u32 v5, v5, v1, 2
	ds_bpermute_b32 v5, v5, v3
	v_add_u32_e32 v7, 2, v1
	v_cmp_lt_u32_e32 vcc, v7, v6
	v_add_u32_e32 v7, 4, v1
	s_waitcnt lgkmcnt(0)
	v_add_f32_e32 v5, v3, v5
	v_cndmask_b32_e32 v3, v3, v5, vcc
	v_cmp_gt_u32_e32 vcc, 60, v2
	v_cndmask_b32_e64 v5, 0, 1, vcc
	v_lshlrev_b32_e32 v5, 2, v5
	v_add_lshl_u32 v5, v5, v1, 2
	ds_bpermute_b32 v5, v5, v3
	v_cmp_lt_u32_e32 vcc, v7, v6
	v_add_u32_e32 v7, 8, v1
	s_waitcnt lgkmcnt(0)
	v_add_f32_e32 v5, v3, v5
	v_cndmask_b32_e32 v3, v3, v5, vcc
	v_cmp_gt_u32_e32 vcc, 56, v2
	v_cndmask_b32_e64 v5, 0, 1, vcc
	v_lshlrev_b32_e32 v5, 3, v5
	v_add_lshl_u32 v5, v5, v1, 2
	ds_bpermute_b32 v5, v5, v3
	;; [unrolled: 10-line block ×3, first 2 shown]
	v_cmp_lt_u32_e32 vcc, v7, v6
	s_waitcnt lgkmcnt(0)
	v_add_f32_e32 v5, v3, v5
	v_cndmask_b32_e32 v3, v3, v5, vcc
	v_cmp_gt_u32_e32 vcc, 32, v2
	v_cndmask_b32_e64 v2, 0, 1, vcc
	v_lshlrev_b32_e32 v2, 5, v2
	v_add_lshl_u32 v2, v2, v1, 2
	ds_bpermute_b32 v2, v2, v3
	v_add_u32_e32 v5, 32, v1
	v_cmp_lt_u32_e32 vcc, v5, v6
	s_waitcnt lgkmcnt(0)
	v_add_f32_e32 v2, v3, v2
	v_cndmask_b32_e32 v2, v3, v2, vcc
	v_cmp_eq_u32_e32 vcc, 0, v1
	s_and_saveexec_b64 s[2:3], vcc
	s_cbranch_execz .LBB3_8
; %bb.7:
	v_lshrrev_b32_e32 v3, 4, v0
	v_and_b32_e32 v3, 60, v3
	ds_write_b32 v3, v2
.LBB3_8:
	s_or_b64 exec, exec, s[2:3]
	v_cmp_gt_u32_e32 vcc, 16, v0
	s_waitcnt lgkmcnt(0)
	s_barrier
	s_and_saveexec_b64 s[6:7], vcc
	s_cbranch_execz .LBB3_10
; %bb.9:
	v_lshlrev_b32_e32 v2, 2, v1
	ds_read_b32 v2, v2
	v_and_b32_e32 v3, 15, v1
	v_cmp_ne_u32_e32 vcc, 15, v3
	v_addc_co_u32_e32 v5, vcc, 0, v1, vcc
	v_lshlrev_b32_e32 v5, 2, v5
	s_waitcnt lgkmcnt(0)
	ds_bpermute_b32 v5, v5, v2
	v_add_u32_e32 v6, 63, v4
	v_lshrrev_b32_e32 v6, 6, v6
	v_add_u32_e32 v7, 1, v3
	v_cmp_gt_u32_e64 s[2:3], 14, v3
	v_cmp_lt_u32_e32 vcc, v7, v6
	v_cndmask_b32_e64 v7, 0, 1, s[2:3]
	s_waitcnt lgkmcnt(0)
	v_add_f32_e32 v5, v2, v5
	v_lshlrev_b32_e32 v7, 1, v7
	v_cndmask_b32_e32 v5, v2, v5, vcc
	v_add_lshl_u32 v7, v7, v1, 2
	ds_bpermute_b32 v7, v7, v5
	v_add_u32_e32 v8, 2, v3
	v_cmp_lt_u32_e64 s[2:3], v8, v6
	v_add_u32_e32 v8, 4, v3
	s_waitcnt lgkmcnt(0)
	v_add_f32_e32 v7, v5, v7
	v_cndmask_b32_e64 v5, v5, v7, s[2:3]
	v_cmp_gt_u32_e64 s[2:3], 12, v3
	v_cndmask_b32_e64 v7, 0, 1, s[2:3]
	v_lshlrev_b32_e32 v7, 2, v7
	v_add_lshl_u32 v7, v7, v1, 2
	ds_bpermute_b32 v7, v7, v5
	v_cmp_lt_u32_e64 s[2:3], v8, v6
	s_waitcnt lgkmcnt(0)
	v_add_f32_e32 v7, v5, v7
	v_cndmask_b32_e64 v5, v5, v7, s[2:3]
	v_cmp_gt_u32_e64 s[2:3], 8, v3
	v_cndmask_b32_e64 v7, 0, 1, s[2:3]
	v_lshlrev_b32_e32 v7, 3, v7
	v_add_lshl_u32 v1, v7, v1, 2
	ds_bpermute_b32 v1, v1, v5
	v_add_u32_e32 v3, 8, v3
	v_cmp_lt_u32_e64 s[2:3], v3, v6
	s_waitcnt lgkmcnt(0)
	v_add_f32_e32 v1, v5, v1
	v_cndmask_b32_e64 v1, v5, v1, s[2:3]
	v_cndmask_b32_e32 v2, v2, v1, vcc
.LBB3_10:
	s_or_b64 exec, exec, s[6:7]
	v_cmp_eq_u32_e32 vcc, 0, v0
	s_and_saveexec_b64 s[2:3], vcc
	s_cbranch_execz .LBB3_12
; %bb.11:
	v_cvt_f32_i32_e32 v1, s14
	s_load_dword s6, s[4:5], 0x18
	v_div_scale_f32 v3, s[4:5], v1, v1, v2
	v_rcp_f32_e32 v5, v3
	v_div_scale_f32 v6, vcc, v2, v1, v2
	s_mov_b32 s4, 0x800000
	v_fma_f32 v7, -v3, v5, 1.0
	v_fmac_f32_e32 v5, v7, v5
	v_mul_f32_e32 v7, v6, v5
	v_fma_f32 v8, -v3, v7, v6
	v_fmac_f32_e32 v7, v8, v5
	v_fma_f32 v3, -v3, v7, v6
	v_div_fmas_f32 v3, v3, v5, v7
	v_div_fixup_f32 v1, v3, v1, v2
	s_waitcnt lgkmcnt(0)
	v_add_f32_e32 v1, s6, v1
	v_mul_f32_e32 v2, 0x4b800000, v1
	v_cmp_gt_f32_e32 vcc, s4, v1
	v_cndmask_b32_e32 v1, v1, v2, vcc
	v_rsq_f32_e32 v1, v1
	v_mul_f32_e32 v2, 0x45800000, v1
	v_cndmask_b32_e32 v1, v1, v2, vcc
	v_mov_b32_e32 v2, 0
	ds_write_b32 v2, v1 offset:64
.LBB3_12:
	s_or_b64 exec, exec, s[2:3]
	s_waitcnt lgkmcnt(0)
	s_barrier
	s_and_saveexec_b64 s[2:3], s[0:1]
	s_cbranch_execz .LBB3_15
; %bb.13:
	v_mov_b32_e32 v3, 0
	ds_read_b32 v5, v3 offset:64
	s_mov_b64 s[0:1], 0
	v_mov_b32_e32 v6, s11
	v_mov_b32_e32 v7, s13
	;; [unrolled: 1-line block ×3, first 2 shown]
.LBB3_14:                               ; =>This Inner Loop Header: Depth=1
	v_add_u32_e32 v2, s15, v0
	v_lshlrev_b64 v[10:11], 2, v[2:3]
	v_ashrrev_i32_e32 v1, 31, v0
	v_add_co_u32_e32 v14, vcc, s10, v10
	v_lshlrev_b64 v[12:13], 2, v[0:1]
	v_addc_co_u32_e32 v15, vcc, v6, v11, vcc
	v_add_co_u32_e32 v12, vcc, s12, v12
	v_addc_co_u32_e32 v13, vcc, v7, v13, vcc
	global_load_dword v1, v[14:15], off
	global_load_dword v2, v[12:13], off
	v_add_co_u32_e32 v10, vcc, s8, v10
	v_add_u32_e32 v0, v0, v4
	v_addc_co_u32_e32 v11, vcc, v8, v11, vcc
	v_cmp_le_i32_e32 vcc, s14, v0
	s_or_b64 s[0:1], vcc, s[0:1]
	s_waitcnt vmcnt(1) lgkmcnt(0)
	v_mul_f32_e32 v1, v1, v5
	s_waitcnt vmcnt(0)
	v_mul_f32_e32 v1, v1, v2
	global_store_dword v[10:11], v1, off
	s_andn2_b64 exec, exec, s[0:1]
	s_cbranch_execnz .LBB3_14
.LBB3_15:
	s_endpgm
	.section	.rodata,"a",@progbits
	.p2align	6, 0x0
	.amdhsa_kernel _ZN4vllm25fused_add_rms_norm_kernelIfLi8EEENSt9enable_ifIXooeqT0_Li0Entsr12_typeConvertIT_EE6existsEvE4typeEPS2_S5_PKS2_fii
		.amdhsa_group_segment_fixed_size 68
		.amdhsa_private_segment_fixed_size 0
		.amdhsa_kernarg_size 296
		.amdhsa_user_sgpr_count 6
		.amdhsa_user_sgpr_private_segment_buffer 1
		.amdhsa_user_sgpr_dispatch_ptr 0
		.amdhsa_user_sgpr_queue_ptr 0
		.amdhsa_user_sgpr_kernarg_segment_ptr 1
		.amdhsa_user_sgpr_dispatch_id 0
		.amdhsa_user_sgpr_flat_scratch_init 0
		.amdhsa_user_sgpr_kernarg_preload_length 0
		.amdhsa_user_sgpr_kernarg_preload_offset 0
		.amdhsa_user_sgpr_private_segment_size 0
		.amdhsa_uses_dynamic_stack 0
		.amdhsa_system_sgpr_private_segment_wavefront_offset 0
		.amdhsa_system_sgpr_workgroup_id_x 1
		.amdhsa_system_sgpr_workgroup_id_y 0
		.amdhsa_system_sgpr_workgroup_id_z 0
		.amdhsa_system_sgpr_workgroup_info 0
		.amdhsa_system_vgpr_workitem_id 0
		.amdhsa_next_free_vgpr 16
		.amdhsa_next_free_sgpr 17
		.amdhsa_accum_offset 16
		.amdhsa_reserve_vcc 1
		.amdhsa_reserve_flat_scratch 0
		.amdhsa_float_round_mode_32 0
		.amdhsa_float_round_mode_16_64 0
		.amdhsa_float_denorm_mode_32 3
		.amdhsa_float_denorm_mode_16_64 3
		.amdhsa_dx10_clamp 1
		.amdhsa_ieee_mode 1
		.amdhsa_fp16_overflow 0
		.amdhsa_tg_split 0
		.amdhsa_exception_fp_ieee_invalid_op 0
		.amdhsa_exception_fp_denorm_src 0
		.amdhsa_exception_fp_ieee_div_zero 0
		.amdhsa_exception_fp_ieee_overflow 0
		.amdhsa_exception_fp_ieee_underflow 0
		.amdhsa_exception_fp_ieee_inexact 0
		.amdhsa_exception_int_div_zero 0
	.end_amdhsa_kernel
	.section	.text._ZN4vllm25fused_add_rms_norm_kernelIfLi8EEENSt9enable_ifIXooeqT0_Li0Entsr12_typeConvertIT_EE6existsEvE4typeEPS2_S5_PKS2_fii,"axG",@progbits,_ZN4vllm25fused_add_rms_norm_kernelIfLi8EEENSt9enable_ifIXooeqT0_Li0Entsr12_typeConvertIT_EE6existsEvE4typeEPS2_S5_PKS2_fii,comdat
.Lfunc_end3:
	.size	_ZN4vllm25fused_add_rms_norm_kernelIfLi8EEENSt9enable_ifIXooeqT0_Li0Entsr12_typeConvertIT_EE6existsEvE4typeEPS2_S5_PKS2_fii, .Lfunc_end3-_ZN4vllm25fused_add_rms_norm_kernelIfLi8EEENSt9enable_ifIXooeqT0_Li0Entsr12_typeConvertIT_EE6existsEvE4typeEPS2_S5_PKS2_fii
                                        ; -- End function
	.section	.AMDGPU.csdata,"",@progbits
; Kernel info:
; codeLenInByte = 1212
; NumSgprs: 21
; NumVgprs: 16
; NumAgprs: 0
; TotalNumVgprs: 16
; ScratchSize: 0
; MemoryBound: 0
; FloatMode: 240
; IeeeMode: 1
; LDSByteSize: 68 bytes/workgroup (compile time only)
; SGPRBlocks: 2
; VGPRBlocks: 1
; NumSGPRsForWavesPerEU: 21
; NumVGPRsForWavesPerEU: 16
; AccumOffset: 16
; Occupancy: 8
; WaveLimiterHint : 0
; COMPUTE_PGM_RSRC2:SCRATCH_EN: 0
; COMPUTE_PGM_RSRC2:USER_SGPR: 6
; COMPUTE_PGM_RSRC2:TRAP_HANDLER: 0
; COMPUTE_PGM_RSRC2:TGID_X_EN: 1
; COMPUTE_PGM_RSRC2:TGID_Y_EN: 0
; COMPUTE_PGM_RSRC2:TGID_Z_EN: 0
; COMPUTE_PGM_RSRC2:TIDIG_COMP_CNT: 0
; COMPUTE_PGM_RSRC3_GFX90A:ACCUM_OFFSET: 3
; COMPUTE_PGM_RSRC3_GFX90A:TG_SPLIT: 0
	.section	.text._ZN4vllm25fused_add_rms_norm_kernelIN3c104HalfELi8EEENSt9enable_ifIXooeqT0_Li0Entsr12_typeConvertIT_EE6existsEvE4typeEPS4_S7_PKS4_fii,"axG",@progbits,_ZN4vllm25fused_add_rms_norm_kernelIN3c104HalfELi8EEENSt9enable_ifIXooeqT0_Li0Entsr12_typeConvertIT_EE6existsEvE4typeEPS4_S7_PKS4_fii,comdat
	.protected	_ZN4vllm25fused_add_rms_norm_kernelIN3c104HalfELi8EEENSt9enable_ifIXooeqT0_Li0Entsr12_typeConvertIT_EE6existsEvE4typeEPS4_S7_PKS4_fii ; -- Begin function _ZN4vllm25fused_add_rms_norm_kernelIN3c104HalfELi8EEENSt9enable_ifIXooeqT0_Li0Entsr12_typeConvertIT_EE6existsEvE4typeEPS4_S7_PKS4_fii
	.globl	_ZN4vllm25fused_add_rms_norm_kernelIN3c104HalfELi8EEENSt9enable_ifIXooeqT0_Li0Entsr12_typeConvertIT_EE6existsEvE4typeEPS4_S7_PKS4_fii
	.p2align	8
	.type	_ZN4vllm25fused_add_rms_norm_kernelIN3c104HalfELi8EEENSt9enable_ifIXooeqT0_Li0Entsr12_typeConvertIT_EE6existsEvE4typeEPS4_S7_PKS4_fii,@function
_ZN4vllm25fused_add_rms_norm_kernelIN3c104HalfELi8EEENSt9enable_ifIXooeqT0_Li0Entsr12_typeConvertIT_EE6existsEvE4typeEPS4_S7_PKS4_fii: ; @_ZN4vllm25fused_add_rms_norm_kernelIN3c104HalfELi8EEENSt9enable_ifIXooeqT0_Li0Entsr12_typeConvertIT_EE6existsEvE4typeEPS4_S7_PKS4_fii
; %bb.0:
	s_load_dword s14, s[4:5], 0x20
	s_load_dwordx4 s[8:11], s[4:5], 0x0
                                        ; implicit-def: $sgpr15
                                        ; implicit-def: $sgpr7
	s_waitcnt lgkmcnt(0)
	v_cmp_gt_i32_e64 s[0:1], s14, v0
	v_cmp_le_i32_e32 vcc, s14, v0
	s_and_saveexec_b64 s[2:3], vcc
	s_xor_b64 s[2:3], exec, s[2:3]
	s_cbranch_execz .LBB4_2
; %bb.1:
	s_load_dword s7, s[4:5], 0x34
	s_mov_b32 s15, 0
	s_waitcnt lgkmcnt(0)
	s_and_b32 s7, s7, 0xffff
.LBB4_2:
	s_or_saveexec_b64 s[2:3], s[2:3]
	s_load_dwordx2 s[12:13], s[4:5], 0x10
	v_mov_b32_e32 v5, s15
	v_mov_b32_e32 v4, s7
	s_mul_i32 s15, s6, s14
	s_xor_b64 exec, exec, s[2:3]
	s_cbranch_execz .LBB4_6
; %bb.3:
	s_load_dword s16, s[4:5], 0x34
	s_mov_b64 s[6:7], 0
	v_mov_b32_e32 v3, 0
	v_mov_b32_e32 v1, s9
	;; [unrolled: 1-line block ×3, first 2 shown]
	s_waitcnt lgkmcnt(0)
	s_and_b32 s16, s16, 0xffff
	v_mov_b32_e32 v5, 0
	v_mov_b32_e32 v6, v0
.LBB4_4:                                ; =>This Inner Loop Header: Depth=1
	v_add_u32_e32 v2, s15, v6
	v_lshlrev_b64 v[8:9], 1, v[2:3]
	v_add_co_u32_e32 v10, vcc, s8, v8
	v_addc_co_u32_e32 v11, vcc, v1, v9, vcc
	v_add_co_u32_e32 v8, vcc, s10, v8
	v_addc_co_u32_e32 v9, vcc, v4, v9, vcc
	global_load_ushort v2, v[10:11], off
	global_load_ushort v7, v[8:9], off
	v_add_u32_e32 v6, s16, v6
	v_cmp_le_i32_e32 vcc, s14, v6
	s_or_b64 s[6:7], vcc, s[6:7]
	s_waitcnt vmcnt(0)
	v_add_f16_e32 v2, v2, v7
	v_fma_mix_f32 v5, v2, v2, v5 op_sel_hi:[1,1,0]
	global_store_short v[8:9], v2, off
	s_andn2_b64 exec, exec, s[6:7]
	s_cbranch_execnz .LBB4_4
; %bb.5:
	s_or_b64 exec, exec, s[6:7]
	v_mov_b32_e32 v4, s16
.LBB4_6:
	s_or_b64 exec, exec, s[2:3]
	v_mbcnt_lo_u32_b32 v1, -1, 0
	v_mbcnt_hi_u32_b32 v1, -1, v1
	v_and_b32_e32 v2, 63, v1
	v_cmp_ne_u32_e32 vcc, 63, v2
	v_addc_co_u32_e32 v3, vcc, 0, v1, vcc
	v_lshlrev_b32_e32 v3, 2, v3
	ds_bpermute_b32 v3, v3, v5
	v_and_b32_e32 v6, 0x3c0, v0
	v_sub_u32_e64 v6, v4, v6 clamp
	v_add_u32_e32 v7, 1, v1
	v_cmp_lt_u32_e32 vcc, v7, v6
	s_waitcnt lgkmcnt(0)
	v_add_f32_e32 v3, v5, v3
	v_cndmask_b32_e32 v3, v5, v3, vcc
	v_cmp_gt_u32_e32 vcc, 62, v2
	v_cndmask_b32_e64 v5, 0, 1, vcc
	v_lshlrev_b32_e32 v5, 1, v5
	v_add_lshl_u32 v5, v5, v1, 2
	ds_bpermute_b32 v5, v5, v3
	v_add_u32_e32 v7, 2, v1
	v_cmp_lt_u32_e32 vcc, v7, v6
	v_add_u32_e32 v7, 4, v1
	s_waitcnt lgkmcnt(0)
	v_add_f32_e32 v5, v3, v5
	v_cndmask_b32_e32 v3, v3, v5, vcc
	v_cmp_gt_u32_e32 vcc, 60, v2
	v_cndmask_b32_e64 v5, 0, 1, vcc
	v_lshlrev_b32_e32 v5, 2, v5
	v_add_lshl_u32 v5, v5, v1, 2
	ds_bpermute_b32 v5, v5, v3
	v_cmp_lt_u32_e32 vcc, v7, v6
	v_add_u32_e32 v7, 8, v1
	s_waitcnt lgkmcnt(0)
	v_add_f32_e32 v5, v3, v5
	v_cndmask_b32_e32 v3, v3, v5, vcc
	v_cmp_gt_u32_e32 vcc, 56, v2
	v_cndmask_b32_e64 v5, 0, 1, vcc
	v_lshlrev_b32_e32 v5, 3, v5
	v_add_lshl_u32 v5, v5, v1, 2
	ds_bpermute_b32 v5, v5, v3
	;; [unrolled: 10-line block ×3, first 2 shown]
	v_cmp_lt_u32_e32 vcc, v7, v6
	s_waitcnt lgkmcnt(0)
	v_add_f32_e32 v5, v3, v5
	v_cndmask_b32_e32 v3, v3, v5, vcc
	v_cmp_gt_u32_e32 vcc, 32, v2
	v_cndmask_b32_e64 v2, 0, 1, vcc
	v_lshlrev_b32_e32 v2, 5, v2
	v_add_lshl_u32 v2, v2, v1, 2
	ds_bpermute_b32 v2, v2, v3
	v_add_u32_e32 v5, 32, v1
	v_cmp_lt_u32_e32 vcc, v5, v6
	s_waitcnt lgkmcnt(0)
	v_add_f32_e32 v2, v3, v2
	v_cndmask_b32_e32 v2, v3, v2, vcc
	v_cmp_eq_u32_e32 vcc, 0, v1
	s_and_saveexec_b64 s[2:3], vcc
	s_cbranch_execz .LBB4_8
; %bb.7:
	v_lshrrev_b32_e32 v3, 4, v0
	v_and_b32_e32 v3, 60, v3
	ds_write_b32 v3, v2
.LBB4_8:
	s_or_b64 exec, exec, s[2:3]
	v_cmp_gt_u32_e32 vcc, 16, v0
	s_waitcnt lgkmcnt(0)
	s_barrier
	s_and_saveexec_b64 s[6:7], vcc
	s_cbranch_execz .LBB4_10
; %bb.9:
	v_lshlrev_b32_e32 v2, 2, v1
	ds_read_b32 v2, v2
	v_and_b32_e32 v3, 15, v1
	v_cmp_ne_u32_e32 vcc, 15, v3
	v_addc_co_u32_e32 v5, vcc, 0, v1, vcc
	v_lshlrev_b32_e32 v5, 2, v5
	s_waitcnt lgkmcnt(0)
	ds_bpermute_b32 v5, v5, v2
	v_add_u32_e32 v6, 63, v4
	v_lshrrev_b32_e32 v6, 6, v6
	v_add_u32_e32 v7, 1, v3
	v_cmp_gt_u32_e64 s[2:3], 14, v3
	v_cmp_lt_u32_e32 vcc, v7, v6
	v_cndmask_b32_e64 v7, 0, 1, s[2:3]
	s_waitcnt lgkmcnt(0)
	v_add_f32_e32 v5, v2, v5
	v_lshlrev_b32_e32 v7, 1, v7
	v_cndmask_b32_e32 v5, v2, v5, vcc
	v_add_lshl_u32 v7, v7, v1, 2
	ds_bpermute_b32 v7, v7, v5
	v_add_u32_e32 v8, 2, v3
	v_cmp_lt_u32_e64 s[2:3], v8, v6
	v_add_u32_e32 v8, 4, v3
	s_waitcnt lgkmcnt(0)
	v_add_f32_e32 v7, v5, v7
	v_cndmask_b32_e64 v5, v5, v7, s[2:3]
	v_cmp_gt_u32_e64 s[2:3], 12, v3
	v_cndmask_b32_e64 v7, 0, 1, s[2:3]
	v_lshlrev_b32_e32 v7, 2, v7
	v_add_lshl_u32 v7, v7, v1, 2
	ds_bpermute_b32 v7, v7, v5
	v_cmp_lt_u32_e64 s[2:3], v8, v6
	s_waitcnt lgkmcnt(0)
	v_add_f32_e32 v7, v5, v7
	v_cndmask_b32_e64 v5, v5, v7, s[2:3]
	v_cmp_gt_u32_e64 s[2:3], 8, v3
	v_cndmask_b32_e64 v7, 0, 1, s[2:3]
	v_lshlrev_b32_e32 v7, 3, v7
	v_add_lshl_u32 v1, v7, v1, 2
	ds_bpermute_b32 v1, v1, v5
	v_add_u32_e32 v3, 8, v3
	v_cmp_lt_u32_e64 s[2:3], v3, v6
	s_waitcnt lgkmcnt(0)
	v_add_f32_e32 v1, v5, v1
	v_cndmask_b32_e64 v1, v5, v1, s[2:3]
	v_cndmask_b32_e32 v2, v2, v1, vcc
.LBB4_10:
	s_or_b64 exec, exec, s[6:7]
	v_cmp_eq_u32_e32 vcc, 0, v0
	s_and_saveexec_b64 s[2:3], vcc
	s_cbranch_execz .LBB4_12
; %bb.11:
	v_cvt_f32_i32_e32 v1, s14
	s_load_dword s6, s[4:5], 0x18
	v_div_scale_f32 v3, s[4:5], v1, v1, v2
	v_rcp_f32_e32 v5, v3
	v_div_scale_f32 v6, vcc, v2, v1, v2
	s_mov_b32 s4, 0x800000
	v_fma_f32 v7, -v3, v5, 1.0
	v_fmac_f32_e32 v5, v7, v5
	v_mul_f32_e32 v7, v6, v5
	v_fma_f32 v8, -v3, v7, v6
	v_fmac_f32_e32 v7, v8, v5
	v_fma_f32 v3, -v3, v7, v6
	v_div_fmas_f32 v3, v3, v5, v7
	v_div_fixup_f32 v1, v3, v1, v2
	s_waitcnt lgkmcnt(0)
	v_add_f32_e32 v1, s6, v1
	v_mul_f32_e32 v2, 0x4b800000, v1
	v_cmp_gt_f32_e32 vcc, s4, v1
	v_cndmask_b32_e32 v1, v1, v2, vcc
	v_rsq_f32_e32 v1, v1
	v_mul_f32_e32 v2, 0x45800000, v1
	v_cndmask_b32_e32 v1, v1, v2, vcc
	v_mov_b32_e32 v2, 0
	ds_write_b32 v2, v1 offset:64
.LBB4_12:
	s_or_b64 exec, exec, s[2:3]
	s_waitcnt lgkmcnt(0)
	s_barrier
	s_and_saveexec_b64 s[2:3], s[0:1]
	s_cbranch_execz .LBB4_15
; %bb.13:
	v_mov_b32_e32 v3, 0
	ds_read_b32 v5, v3 offset:64
	s_mov_b64 s[0:1], 0
	v_mov_b32_e32 v6, s11
	v_mov_b32_e32 v7, s13
	;; [unrolled: 1-line block ×3, first 2 shown]
.LBB4_14:                               ; =>This Inner Loop Header: Depth=1
	v_add_u32_e32 v2, s15, v0
	v_lshlrev_b64 v[10:11], 1, v[2:3]
	v_ashrrev_i32_e32 v1, 31, v0
	v_add_co_u32_e32 v14, vcc, s10, v10
	v_lshlrev_b64 v[12:13], 1, v[0:1]
	v_addc_co_u32_e32 v15, vcc, v6, v11, vcc
	v_add_co_u32_e32 v12, vcc, s12, v12
	v_addc_co_u32_e32 v13, vcc, v7, v13, vcc
	global_load_ushort v1, v[14:15], off
	global_load_ushort v2, v[12:13], off
	v_add_co_u32_e32 v10, vcc, s8, v10
	v_add_u32_e32 v0, v0, v4
	v_addc_co_u32_e32 v11, vcc, v8, v11, vcc
	v_cmp_le_i32_e32 vcc, s14, v0
	s_or_b64 s[0:1], vcc, s[0:1]
	s_waitcnt vmcnt(1) lgkmcnt(0)
	v_fma_mixlo_f16 v1, v5, v1, 0 op_sel_hi:[0,1,0]
	s_waitcnt vmcnt(0)
	v_mul_f16_e32 v1, v2, v1
	global_store_short v[10:11], v1, off
	s_andn2_b64 exec, exec, s[0:1]
	s_cbranch_execnz .LBB4_14
.LBB4_15:
	s_endpgm
	.section	.rodata,"a",@progbits
	.p2align	6, 0x0
	.amdhsa_kernel _ZN4vllm25fused_add_rms_norm_kernelIN3c104HalfELi8EEENSt9enable_ifIXooeqT0_Li0Entsr12_typeConvertIT_EE6existsEvE4typeEPS4_S7_PKS4_fii
		.amdhsa_group_segment_fixed_size 68
		.amdhsa_private_segment_fixed_size 0
		.amdhsa_kernarg_size 296
		.amdhsa_user_sgpr_count 6
		.amdhsa_user_sgpr_private_segment_buffer 1
		.amdhsa_user_sgpr_dispatch_ptr 0
		.amdhsa_user_sgpr_queue_ptr 0
		.amdhsa_user_sgpr_kernarg_segment_ptr 1
		.amdhsa_user_sgpr_dispatch_id 0
		.amdhsa_user_sgpr_flat_scratch_init 0
		.amdhsa_user_sgpr_kernarg_preload_length 0
		.amdhsa_user_sgpr_kernarg_preload_offset 0
		.amdhsa_user_sgpr_private_segment_size 0
		.amdhsa_uses_dynamic_stack 0
		.amdhsa_system_sgpr_private_segment_wavefront_offset 0
		.amdhsa_system_sgpr_workgroup_id_x 1
		.amdhsa_system_sgpr_workgroup_id_y 0
		.amdhsa_system_sgpr_workgroup_id_z 0
		.amdhsa_system_sgpr_workgroup_info 0
		.amdhsa_system_vgpr_workitem_id 0
		.amdhsa_next_free_vgpr 16
		.amdhsa_next_free_sgpr 17
		.amdhsa_accum_offset 16
		.amdhsa_reserve_vcc 1
		.amdhsa_reserve_flat_scratch 0
		.amdhsa_float_round_mode_32 0
		.amdhsa_float_round_mode_16_64 0
		.amdhsa_float_denorm_mode_32 3
		.amdhsa_float_denorm_mode_16_64 3
		.amdhsa_dx10_clamp 1
		.amdhsa_ieee_mode 1
		.amdhsa_fp16_overflow 0
		.amdhsa_tg_split 0
		.amdhsa_exception_fp_ieee_invalid_op 0
		.amdhsa_exception_fp_denorm_src 0
		.amdhsa_exception_fp_ieee_div_zero 0
		.amdhsa_exception_fp_ieee_overflow 0
		.amdhsa_exception_fp_ieee_underflow 0
		.amdhsa_exception_fp_ieee_inexact 0
		.amdhsa_exception_int_div_zero 0
	.end_amdhsa_kernel
	.section	.text._ZN4vllm25fused_add_rms_norm_kernelIN3c104HalfELi8EEENSt9enable_ifIXooeqT0_Li0Entsr12_typeConvertIT_EE6existsEvE4typeEPS4_S7_PKS4_fii,"axG",@progbits,_ZN4vllm25fused_add_rms_norm_kernelIN3c104HalfELi8EEENSt9enable_ifIXooeqT0_Li0Entsr12_typeConvertIT_EE6existsEvE4typeEPS4_S7_PKS4_fii,comdat
.Lfunc_end4:
	.size	_ZN4vllm25fused_add_rms_norm_kernelIN3c104HalfELi8EEENSt9enable_ifIXooeqT0_Li0Entsr12_typeConvertIT_EE6existsEvE4typeEPS4_S7_PKS4_fii, .Lfunc_end4-_ZN4vllm25fused_add_rms_norm_kernelIN3c104HalfELi8EEENSt9enable_ifIXooeqT0_Li0Entsr12_typeConvertIT_EE6existsEvE4typeEPS4_S7_PKS4_fii
                                        ; -- End function
	.section	.AMDGPU.csdata,"",@progbits
; Kernel info:
; codeLenInByte = 1220
; NumSgprs: 21
; NumVgprs: 16
; NumAgprs: 0
; TotalNumVgprs: 16
; ScratchSize: 0
; MemoryBound: 0
; FloatMode: 240
; IeeeMode: 1
; LDSByteSize: 68 bytes/workgroup (compile time only)
; SGPRBlocks: 2
; VGPRBlocks: 1
; NumSGPRsForWavesPerEU: 21
; NumVGPRsForWavesPerEU: 16
; AccumOffset: 16
; Occupancy: 8
; WaveLimiterHint : 0
; COMPUTE_PGM_RSRC2:SCRATCH_EN: 0
; COMPUTE_PGM_RSRC2:USER_SGPR: 6
; COMPUTE_PGM_RSRC2:TRAP_HANDLER: 0
; COMPUTE_PGM_RSRC2:TGID_X_EN: 1
; COMPUTE_PGM_RSRC2:TGID_Y_EN: 0
; COMPUTE_PGM_RSRC2:TGID_Z_EN: 0
; COMPUTE_PGM_RSRC2:TIDIG_COMP_CNT: 0
; COMPUTE_PGM_RSRC3_GFX90A:ACCUM_OFFSET: 3
; COMPUTE_PGM_RSRC3_GFX90A:TG_SPLIT: 0
	.section	.text._ZN4vllm25fused_add_rms_norm_kernelIN3c108BFloat16ELi8EEENSt9enable_ifIXooeqT0_Li0Entsr12_typeConvertIT_EE6existsEvE4typeEPS4_S7_PKS4_fii,"axG",@progbits,_ZN4vllm25fused_add_rms_norm_kernelIN3c108BFloat16ELi8EEENSt9enable_ifIXooeqT0_Li0Entsr12_typeConvertIT_EE6existsEvE4typeEPS4_S7_PKS4_fii,comdat
	.protected	_ZN4vllm25fused_add_rms_norm_kernelIN3c108BFloat16ELi8EEENSt9enable_ifIXooeqT0_Li0Entsr12_typeConvertIT_EE6existsEvE4typeEPS4_S7_PKS4_fii ; -- Begin function _ZN4vllm25fused_add_rms_norm_kernelIN3c108BFloat16ELi8EEENSt9enable_ifIXooeqT0_Li0Entsr12_typeConvertIT_EE6existsEvE4typeEPS4_S7_PKS4_fii
	.globl	_ZN4vllm25fused_add_rms_norm_kernelIN3c108BFloat16ELi8EEENSt9enable_ifIXooeqT0_Li0Entsr12_typeConvertIT_EE6existsEvE4typeEPS4_S7_PKS4_fii
	.p2align	8
	.type	_ZN4vllm25fused_add_rms_norm_kernelIN3c108BFloat16ELi8EEENSt9enable_ifIXooeqT0_Li0Entsr12_typeConvertIT_EE6existsEvE4typeEPS4_S7_PKS4_fii,@function
_ZN4vllm25fused_add_rms_norm_kernelIN3c108BFloat16ELi8EEENSt9enable_ifIXooeqT0_Li0Entsr12_typeConvertIT_EE6existsEvE4typeEPS4_S7_PKS4_fii: ; @_ZN4vllm25fused_add_rms_norm_kernelIN3c108BFloat16ELi8EEENSt9enable_ifIXooeqT0_Li0Entsr12_typeConvertIT_EE6existsEvE4typeEPS4_S7_PKS4_fii
; %bb.0:
	s_load_dword s14, s[4:5], 0x20
	s_load_dwordx4 s[8:11], s[4:5], 0x0
                                        ; implicit-def: $sgpr15
                                        ; implicit-def: $sgpr7
	s_waitcnt lgkmcnt(0)
	v_cmp_gt_i32_e64 s[0:1], s14, v0
	v_cmp_le_i32_e32 vcc, s14, v0
	s_and_saveexec_b64 s[2:3], vcc
	s_xor_b64 s[2:3], exec, s[2:3]
	s_cbranch_execz .LBB5_2
; %bb.1:
	s_load_dword s7, s[4:5], 0x34
	s_mov_b32 s15, 0
	s_waitcnt lgkmcnt(0)
	s_and_b32 s7, s7, 0xffff
.LBB5_2:
	s_or_saveexec_b64 s[2:3], s[2:3]
	s_load_dwordx2 s[12:13], s[4:5], 0x10
	v_mov_b32_e32 v5, s15
	v_mov_b32_e32 v4, s7
	s_mul_i32 s15, s6, s14
	s_xor_b64 exec, exec, s[2:3]
	s_cbranch_execz .LBB5_6
; %bb.3:
	s_load_dword s16, s[4:5], 0x34
	s_mov_b64 s[6:7], 0
	v_mov_b32_e32 v3, 0
	v_mov_b32_e32 v1, s9
	;; [unrolled: 1-line block ×3, first 2 shown]
	s_waitcnt lgkmcnt(0)
	s_and_b32 s16, s16, 0xffff
	s_movk_i32 s17, 0x7fff
	v_mov_b32_e32 v6, 0x7fc0
	v_mov_b32_e32 v5, 0
	;; [unrolled: 1-line block ×3, first 2 shown]
.LBB5_4:                                ; =>This Inner Loop Header: Depth=1
	v_add_u32_e32 v2, s15, v7
	v_lshlrev_b64 v[8:9], 1, v[2:3]
	v_add_co_u32_e32 v10, vcc, s8, v8
	v_addc_co_u32_e32 v11, vcc, v1, v9, vcc
	v_add_co_u32_e32 v8, vcc, s10, v8
	v_addc_co_u32_e32 v9, vcc, v4, v9, vcc
	global_load_ushort v2, v[10:11], off
	global_load_ushort v12, v[8:9], off
	v_add_u32_e32 v7, s16, v7
	v_cmp_le_i32_e32 vcc, s14, v7
	s_or_b64 s[6:7], vcc, s[6:7]
	s_waitcnt vmcnt(1)
	v_lshrrev_b16_e32 v10, 8, v2
	v_and_b32_e32 v2, 0xff, v2
	s_waitcnt vmcnt(0)
	v_lshrrev_b16_e32 v11, 8, v12
	v_and_b32_e32 v12, 0xff, v12
	v_lshlrev_b32_e32 v2, 16, v2
	v_lshlrev_b32_e32 v12, 16, v12
	v_lshl_or_b32 v2, v10, 24, v2
	v_lshl_or_b32 v10, v11, 24, v12
	v_add_f32_e32 v2, v2, v10
	v_bfe_u32 v10, v2, 16, 1
	v_add3_u32 v10, v2, v10, s17
	v_lshrrev_b32_e32 v10, 16, v10
	v_cmp_o_f32_e32 vcc, v2, v2
	v_cndmask_b32_e32 v2, v6, v10, vcc
	v_and_b32_e32 v11, 0xff, v2
	v_lshrrev_b16_e32 v10, 8, v2
	global_store_short v[8:9], v2, off
	v_lshlrev_b32_e32 v2, 16, v11
	v_lshl_or_b32 v2, v10, 24, v2
	v_fmac_f32_e32 v5, v2, v2
	s_andn2_b64 exec, exec, s[6:7]
	s_cbranch_execnz .LBB5_4
; %bb.5:
	s_or_b64 exec, exec, s[6:7]
	v_mov_b32_e32 v4, s16
.LBB5_6:
	s_or_b64 exec, exec, s[2:3]
	v_mbcnt_lo_u32_b32 v1, -1, 0
	v_mbcnt_hi_u32_b32 v1, -1, v1
	v_and_b32_e32 v2, 63, v1
	v_cmp_ne_u32_e32 vcc, 63, v2
	v_addc_co_u32_e32 v3, vcc, 0, v1, vcc
	v_lshlrev_b32_e32 v3, 2, v3
	ds_bpermute_b32 v3, v3, v5
	v_and_b32_e32 v6, 0x3c0, v0
	v_sub_u32_e64 v6, v4, v6 clamp
	v_add_u32_e32 v7, 1, v1
	v_cmp_lt_u32_e32 vcc, v7, v6
	s_waitcnt lgkmcnt(0)
	v_add_f32_e32 v3, v5, v3
	v_cndmask_b32_e32 v3, v5, v3, vcc
	v_cmp_gt_u32_e32 vcc, 62, v2
	v_cndmask_b32_e64 v5, 0, 1, vcc
	v_lshlrev_b32_e32 v5, 1, v5
	v_add_lshl_u32 v5, v5, v1, 2
	ds_bpermute_b32 v5, v5, v3
	v_add_u32_e32 v7, 2, v1
	v_cmp_lt_u32_e32 vcc, v7, v6
	v_add_u32_e32 v7, 4, v1
	s_waitcnt lgkmcnt(0)
	v_add_f32_e32 v5, v3, v5
	v_cndmask_b32_e32 v3, v3, v5, vcc
	v_cmp_gt_u32_e32 vcc, 60, v2
	v_cndmask_b32_e64 v5, 0, 1, vcc
	v_lshlrev_b32_e32 v5, 2, v5
	v_add_lshl_u32 v5, v5, v1, 2
	ds_bpermute_b32 v5, v5, v3
	v_cmp_lt_u32_e32 vcc, v7, v6
	v_add_u32_e32 v7, 8, v1
	s_waitcnt lgkmcnt(0)
	v_add_f32_e32 v5, v3, v5
	v_cndmask_b32_e32 v3, v3, v5, vcc
	v_cmp_gt_u32_e32 vcc, 56, v2
	v_cndmask_b32_e64 v5, 0, 1, vcc
	v_lshlrev_b32_e32 v5, 3, v5
	v_add_lshl_u32 v5, v5, v1, 2
	ds_bpermute_b32 v5, v5, v3
	;; [unrolled: 10-line block ×3, first 2 shown]
	v_cmp_lt_u32_e32 vcc, v7, v6
	s_waitcnt lgkmcnt(0)
	v_add_f32_e32 v5, v3, v5
	v_cndmask_b32_e32 v3, v3, v5, vcc
	v_cmp_gt_u32_e32 vcc, 32, v2
	v_cndmask_b32_e64 v2, 0, 1, vcc
	v_lshlrev_b32_e32 v2, 5, v2
	v_add_lshl_u32 v2, v2, v1, 2
	ds_bpermute_b32 v2, v2, v3
	v_add_u32_e32 v5, 32, v1
	v_cmp_lt_u32_e32 vcc, v5, v6
	s_waitcnt lgkmcnt(0)
	v_add_f32_e32 v2, v3, v2
	v_cndmask_b32_e32 v2, v3, v2, vcc
	v_cmp_eq_u32_e32 vcc, 0, v1
	s_and_saveexec_b64 s[2:3], vcc
	s_cbranch_execz .LBB5_8
; %bb.7:
	v_lshrrev_b32_e32 v3, 4, v0
	v_and_b32_e32 v3, 60, v3
	ds_write_b32 v3, v2
.LBB5_8:
	s_or_b64 exec, exec, s[2:3]
	v_cmp_gt_u32_e32 vcc, 16, v0
	s_waitcnt lgkmcnt(0)
	s_barrier
	s_and_saveexec_b64 s[6:7], vcc
	s_cbranch_execz .LBB5_10
; %bb.9:
	v_lshlrev_b32_e32 v2, 2, v1
	ds_read_b32 v2, v2
	v_and_b32_e32 v3, 15, v1
	v_cmp_ne_u32_e32 vcc, 15, v3
	v_addc_co_u32_e32 v5, vcc, 0, v1, vcc
	v_lshlrev_b32_e32 v5, 2, v5
	s_waitcnt lgkmcnt(0)
	ds_bpermute_b32 v5, v5, v2
	v_add_u32_e32 v6, 63, v4
	v_lshrrev_b32_e32 v6, 6, v6
	v_add_u32_e32 v7, 1, v3
	v_cmp_gt_u32_e64 s[2:3], 14, v3
	v_cmp_lt_u32_e32 vcc, v7, v6
	v_cndmask_b32_e64 v7, 0, 1, s[2:3]
	s_waitcnt lgkmcnt(0)
	v_add_f32_e32 v5, v2, v5
	v_lshlrev_b32_e32 v7, 1, v7
	v_cndmask_b32_e32 v5, v2, v5, vcc
	v_add_lshl_u32 v7, v7, v1, 2
	ds_bpermute_b32 v7, v7, v5
	v_add_u32_e32 v8, 2, v3
	v_cmp_lt_u32_e64 s[2:3], v8, v6
	v_add_u32_e32 v8, 4, v3
	s_waitcnt lgkmcnt(0)
	v_add_f32_e32 v7, v5, v7
	v_cndmask_b32_e64 v5, v5, v7, s[2:3]
	v_cmp_gt_u32_e64 s[2:3], 12, v3
	v_cndmask_b32_e64 v7, 0, 1, s[2:3]
	v_lshlrev_b32_e32 v7, 2, v7
	v_add_lshl_u32 v7, v7, v1, 2
	ds_bpermute_b32 v7, v7, v5
	v_cmp_lt_u32_e64 s[2:3], v8, v6
	s_waitcnt lgkmcnt(0)
	v_add_f32_e32 v7, v5, v7
	v_cndmask_b32_e64 v5, v5, v7, s[2:3]
	v_cmp_gt_u32_e64 s[2:3], 8, v3
	v_cndmask_b32_e64 v7, 0, 1, s[2:3]
	v_lshlrev_b32_e32 v7, 3, v7
	v_add_lshl_u32 v1, v7, v1, 2
	ds_bpermute_b32 v1, v1, v5
	v_add_u32_e32 v3, 8, v3
	v_cmp_lt_u32_e64 s[2:3], v3, v6
	s_waitcnt lgkmcnt(0)
	v_add_f32_e32 v1, v5, v1
	v_cndmask_b32_e64 v1, v5, v1, s[2:3]
	v_cndmask_b32_e32 v2, v2, v1, vcc
.LBB5_10:
	s_or_b64 exec, exec, s[6:7]
	v_cmp_eq_u32_e32 vcc, 0, v0
	s_and_saveexec_b64 s[2:3], vcc
	s_cbranch_execz .LBB5_12
; %bb.11:
	v_cvt_f32_i32_e32 v1, s14
	s_load_dword s6, s[4:5], 0x18
	v_div_scale_f32 v3, s[4:5], v1, v1, v2
	v_rcp_f32_e32 v5, v3
	v_div_scale_f32 v6, vcc, v2, v1, v2
	s_mov_b32 s4, 0x800000
	v_fma_f32 v7, -v3, v5, 1.0
	v_fmac_f32_e32 v5, v7, v5
	v_mul_f32_e32 v7, v6, v5
	v_fma_f32 v8, -v3, v7, v6
	v_fmac_f32_e32 v7, v8, v5
	v_fma_f32 v3, -v3, v7, v6
	v_div_fmas_f32 v3, v3, v5, v7
	v_div_fixup_f32 v1, v3, v1, v2
	s_waitcnt lgkmcnt(0)
	v_add_f32_e32 v1, s6, v1
	v_mul_f32_e32 v2, 0x4b800000, v1
	v_cmp_gt_f32_e32 vcc, s4, v1
	v_cndmask_b32_e32 v1, v1, v2, vcc
	v_rsq_f32_e32 v1, v1
	v_mul_f32_e32 v2, 0x45800000, v1
	v_cndmask_b32_e32 v1, v1, v2, vcc
	v_mov_b32_e32 v2, 0
	ds_write_b32 v2, v1 offset:64
.LBB5_12:
	s_or_b64 exec, exec, s[2:3]
	s_waitcnt lgkmcnt(0)
	s_barrier
	s_and_saveexec_b64 s[2:3], s[0:1]
	s_cbranch_execz .LBB5_15
; %bb.13:
	v_mov_b32_e32 v3, 0
	ds_read_b32 v5, v3 offset:64
	s_mov_b64 s[0:1], 0
	v_mov_b32_e32 v6, s11
	s_movk_i32 s2, 0x7fff
	v_mov_b32_e32 v7, 0x7fc0
	v_mov_b32_e32 v8, s13
	;; [unrolled: 1-line block ×3, first 2 shown]
.LBB5_14:                               ; =>This Inner Loop Header: Depth=1
	v_add_u32_e32 v2, s15, v0
	v_lshlrev_b64 v[10:11], 1, v[2:3]
	v_ashrrev_i32_e32 v1, 31, v0
	v_add_co_u32_e32 v14, vcc, s10, v10
	v_lshlrev_b64 v[12:13], 1, v[0:1]
	v_addc_co_u32_e32 v15, vcc, v6, v11, vcc
	v_add_co_u32_e32 v12, vcc, s12, v12
	v_addc_co_u32_e32 v13, vcc, v8, v13, vcc
	global_load_ushort v1, v[14:15], off
	global_load_ushort v2, v[12:13], off
	v_add_co_u32_e32 v10, vcc, s8, v10
	v_add_u32_e32 v0, v0, v4
	v_addc_co_u32_e32 v11, vcc, v9, v11, vcc
	v_cmp_le_i32_e32 vcc, s14, v0
	s_or_b64 s[0:1], vcc, s[0:1]
	s_waitcnt vmcnt(1)
	v_lshrrev_b16_e32 v12, 8, v1
	v_and_b32_e32 v1, 0xff, v1
	v_lshlrev_b32_e32 v1, 16, v1
	v_lshl_or_b32 v1, v12, 24, v1
	s_waitcnt lgkmcnt(0)
	v_mul_f32_e32 v1, v5, v1
	v_bfe_u32 v12, v1, 16, 1
	v_add3_u32 v12, v1, v12, s2
	v_lshrrev_b32_e32 v12, 16, v12
	v_cmp_o_f32_e32 vcc, v1, v1
	v_cndmask_b32_e32 v1, v7, v12, vcc
	s_waitcnt vmcnt(0)
	v_lshrrev_b16_e32 v13, 8, v2
	v_and_b32_e32 v2, 0xff, v2
	v_lshrrev_b16_e32 v12, 8, v1
	v_and_b32_e32 v1, 0xff, v1
	v_lshlrev_b32_e32 v2, 16, v2
	v_lshlrev_b32_e32 v1, 16, v1
	v_lshl_or_b32 v2, v13, 24, v2
	v_lshl_or_b32 v1, v12, 24, v1
	v_mul_f32_e32 v1, v2, v1
	v_bfe_u32 v2, v1, 16, 1
	v_add3_u32 v2, v1, v2, s2
	v_lshrrev_b32_e32 v2, 16, v2
	v_cmp_o_f32_e32 vcc, v1, v1
	v_cndmask_b32_e32 v1, v7, v2, vcc
	global_store_short v[10:11], v1, off
	s_andn2_b64 exec, exec, s[0:1]
	s_cbranch_execnz .LBB5_14
.LBB5_15:
	s_endpgm
	.section	.rodata,"a",@progbits
	.p2align	6, 0x0
	.amdhsa_kernel _ZN4vllm25fused_add_rms_norm_kernelIN3c108BFloat16ELi8EEENSt9enable_ifIXooeqT0_Li0Entsr12_typeConvertIT_EE6existsEvE4typeEPS4_S7_PKS4_fii
		.amdhsa_group_segment_fixed_size 68
		.amdhsa_private_segment_fixed_size 0
		.amdhsa_kernarg_size 296
		.amdhsa_user_sgpr_count 6
		.amdhsa_user_sgpr_private_segment_buffer 1
		.amdhsa_user_sgpr_dispatch_ptr 0
		.amdhsa_user_sgpr_queue_ptr 0
		.amdhsa_user_sgpr_kernarg_segment_ptr 1
		.amdhsa_user_sgpr_dispatch_id 0
		.amdhsa_user_sgpr_flat_scratch_init 0
		.amdhsa_user_sgpr_kernarg_preload_length 0
		.amdhsa_user_sgpr_kernarg_preload_offset 0
		.amdhsa_user_sgpr_private_segment_size 0
		.amdhsa_uses_dynamic_stack 0
		.amdhsa_system_sgpr_private_segment_wavefront_offset 0
		.amdhsa_system_sgpr_workgroup_id_x 1
		.amdhsa_system_sgpr_workgroup_id_y 0
		.amdhsa_system_sgpr_workgroup_id_z 0
		.amdhsa_system_sgpr_workgroup_info 0
		.amdhsa_system_vgpr_workitem_id 0
		.amdhsa_next_free_vgpr 16
		.amdhsa_next_free_sgpr 18
		.amdhsa_accum_offset 16
		.amdhsa_reserve_vcc 1
		.amdhsa_reserve_flat_scratch 0
		.amdhsa_float_round_mode_32 0
		.amdhsa_float_round_mode_16_64 0
		.amdhsa_float_denorm_mode_32 3
		.amdhsa_float_denorm_mode_16_64 3
		.amdhsa_dx10_clamp 1
		.amdhsa_ieee_mode 1
		.amdhsa_fp16_overflow 0
		.amdhsa_tg_split 0
		.amdhsa_exception_fp_ieee_invalid_op 0
		.amdhsa_exception_fp_denorm_src 0
		.amdhsa_exception_fp_ieee_div_zero 0
		.amdhsa_exception_fp_ieee_overflow 0
		.amdhsa_exception_fp_ieee_underflow 0
		.amdhsa_exception_fp_ieee_inexact 0
		.amdhsa_exception_int_div_zero 0
	.end_amdhsa_kernel
	.section	.text._ZN4vllm25fused_add_rms_norm_kernelIN3c108BFloat16ELi8EEENSt9enable_ifIXooeqT0_Li0Entsr12_typeConvertIT_EE6existsEvE4typeEPS4_S7_PKS4_fii,"axG",@progbits,_ZN4vllm25fused_add_rms_norm_kernelIN3c108BFloat16ELi8EEENSt9enable_ifIXooeqT0_Li0Entsr12_typeConvertIT_EE6existsEvE4typeEPS4_S7_PKS4_fii,comdat
.Lfunc_end5:
	.size	_ZN4vllm25fused_add_rms_norm_kernelIN3c108BFloat16ELi8EEENSt9enable_ifIXooeqT0_Li0Entsr12_typeConvertIT_EE6existsEvE4typeEPS4_S7_PKS4_fii, .Lfunc_end5-_ZN4vllm25fused_add_rms_norm_kernelIN3c108BFloat16ELi8EEENSt9enable_ifIXooeqT0_Li0Entsr12_typeConvertIT_EE6existsEvE4typeEPS4_S7_PKS4_fii
                                        ; -- End function
	.section	.AMDGPU.csdata,"",@progbits
; Kernel info:
; codeLenInByte = 1472
; NumSgprs: 22
; NumVgprs: 16
; NumAgprs: 0
; TotalNumVgprs: 16
; ScratchSize: 0
; MemoryBound: 0
; FloatMode: 240
; IeeeMode: 1
; LDSByteSize: 68 bytes/workgroup (compile time only)
; SGPRBlocks: 2
; VGPRBlocks: 1
; NumSGPRsForWavesPerEU: 22
; NumVGPRsForWavesPerEU: 16
; AccumOffset: 16
; Occupancy: 8
; WaveLimiterHint : 0
; COMPUTE_PGM_RSRC2:SCRATCH_EN: 0
; COMPUTE_PGM_RSRC2:USER_SGPR: 6
; COMPUTE_PGM_RSRC2:TRAP_HANDLER: 0
; COMPUTE_PGM_RSRC2:TGID_X_EN: 1
; COMPUTE_PGM_RSRC2:TGID_Y_EN: 0
; COMPUTE_PGM_RSRC2:TGID_Z_EN: 0
; COMPUTE_PGM_RSRC2:TIDIG_COMP_CNT: 0
; COMPUTE_PGM_RSRC3_GFX90A:ACCUM_OFFSET: 3
; COMPUTE_PGM_RSRC3_GFX90A:TG_SPLIT: 0
	.section	.text._ZN4vllm25fused_add_rms_norm_kernelIfLi0EEENSt9enable_ifIXooeqT0_Li0Entsr12_typeConvertIT_EE6existsEvE4typeEPS2_S5_PKS2_fii,"axG",@progbits,_ZN4vllm25fused_add_rms_norm_kernelIfLi0EEENSt9enable_ifIXooeqT0_Li0Entsr12_typeConvertIT_EE6existsEvE4typeEPS2_S5_PKS2_fii,comdat
	.protected	_ZN4vllm25fused_add_rms_norm_kernelIfLi0EEENSt9enable_ifIXooeqT0_Li0Entsr12_typeConvertIT_EE6existsEvE4typeEPS2_S5_PKS2_fii ; -- Begin function _ZN4vllm25fused_add_rms_norm_kernelIfLi0EEENSt9enable_ifIXooeqT0_Li0Entsr12_typeConvertIT_EE6existsEvE4typeEPS2_S5_PKS2_fii
	.globl	_ZN4vllm25fused_add_rms_norm_kernelIfLi0EEENSt9enable_ifIXooeqT0_Li0Entsr12_typeConvertIT_EE6existsEvE4typeEPS2_S5_PKS2_fii
	.p2align	8
	.type	_ZN4vllm25fused_add_rms_norm_kernelIfLi0EEENSt9enable_ifIXooeqT0_Li0Entsr12_typeConvertIT_EE6existsEvE4typeEPS2_S5_PKS2_fii,@function
_ZN4vllm25fused_add_rms_norm_kernelIfLi0EEENSt9enable_ifIXooeqT0_Li0Entsr12_typeConvertIT_EE6existsEvE4typeEPS2_S5_PKS2_fii: ; @_ZN4vllm25fused_add_rms_norm_kernelIfLi0EEENSt9enable_ifIXooeqT0_Li0Entsr12_typeConvertIT_EE6existsEvE4typeEPS2_S5_PKS2_fii
; %bb.0:
	s_load_dword s14, s[4:5], 0x20
	s_load_dwordx4 s[8:11], s[4:5], 0x0
                                        ; implicit-def: $sgpr15
                                        ; implicit-def: $sgpr7
	s_waitcnt lgkmcnt(0)
	v_cmp_gt_i32_e64 s[0:1], s14, v0
	v_cmp_le_i32_e32 vcc, s14, v0
	s_and_saveexec_b64 s[2:3], vcc
	s_xor_b64 s[2:3], exec, s[2:3]
	s_cbranch_execz .LBB6_2
; %bb.1:
	s_load_dword s7, s[4:5], 0x34
	s_mov_b32 s15, 0
	s_waitcnt lgkmcnt(0)
	s_and_b32 s7, s7, 0xffff
.LBB6_2:
	s_or_saveexec_b64 s[2:3], s[2:3]
	s_load_dwordx2 s[12:13], s[4:5], 0x10
	v_mov_b32_e32 v5, s15
	v_mov_b32_e32 v4, s7
	s_mul_i32 s15, s6, s14
	s_xor_b64 exec, exec, s[2:3]
	s_cbranch_execz .LBB6_6
; %bb.3:
	s_load_dword s16, s[4:5], 0x34
	s_mov_b64 s[6:7], 0
	v_mov_b32_e32 v3, 0
	v_mov_b32_e32 v1, s9
	;; [unrolled: 1-line block ×3, first 2 shown]
	s_waitcnt lgkmcnt(0)
	s_and_b32 s16, s16, 0xffff
	v_mov_b32_e32 v5, 0
	v_mov_b32_e32 v6, v0
.LBB6_4:                                ; =>This Inner Loop Header: Depth=1
	v_add_u32_e32 v2, s15, v6
	v_lshlrev_b64 v[8:9], 2, v[2:3]
	v_add_co_u32_e32 v10, vcc, s8, v8
	v_addc_co_u32_e32 v11, vcc, v1, v9, vcc
	v_add_co_u32_e32 v8, vcc, s10, v8
	v_addc_co_u32_e32 v9, vcc, v4, v9, vcc
	global_load_dword v2, v[10:11], off
	global_load_dword v7, v[8:9], off
	v_add_u32_e32 v6, s16, v6
	v_cmp_le_i32_e32 vcc, s14, v6
	s_or_b64 s[6:7], vcc, s[6:7]
	s_waitcnt vmcnt(0)
	v_add_f32_e32 v2, v2, v7
	v_fmac_f32_e32 v5, v2, v2
	global_store_dword v[8:9], v2, off
	s_andn2_b64 exec, exec, s[6:7]
	s_cbranch_execnz .LBB6_4
; %bb.5:
	s_or_b64 exec, exec, s[6:7]
	v_mov_b32_e32 v4, s16
.LBB6_6:
	s_or_b64 exec, exec, s[2:3]
	v_mbcnt_lo_u32_b32 v1, -1, 0
	v_mbcnt_hi_u32_b32 v1, -1, v1
	v_and_b32_e32 v2, 63, v1
	v_cmp_ne_u32_e32 vcc, 63, v2
	v_addc_co_u32_e32 v3, vcc, 0, v1, vcc
	v_lshlrev_b32_e32 v3, 2, v3
	ds_bpermute_b32 v3, v3, v5
	v_and_b32_e32 v6, 0x3c0, v0
	v_sub_u32_e64 v6, v4, v6 clamp
	v_add_u32_e32 v7, 1, v1
	v_cmp_lt_u32_e32 vcc, v7, v6
	s_waitcnt lgkmcnt(0)
	v_add_f32_e32 v3, v5, v3
	v_cndmask_b32_e32 v3, v5, v3, vcc
	v_cmp_gt_u32_e32 vcc, 62, v2
	v_cndmask_b32_e64 v5, 0, 1, vcc
	v_lshlrev_b32_e32 v5, 1, v5
	v_add_lshl_u32 v5, v5, v1, 2
	ds_bpermute_b32 v5, v5, v3
	v_add_u32_e32 v7, 2, v1
	v_cmp_lt_u32_e32 vcc, v7, v6
	v_add_u32_e32 v7, 4, v1
	s_waitcnt lgkmcnt(0)
	v_add_f32_e32 v5, v3, v5
	v_cndmask_b32_e32 v3, v3, v5, vcc
	v_cmp_gt_u32_e32 vcc, 60, v2
	v_cndmask_b32_e64 v5, 0, 1, vcc
	v_lshlrev_b32_e32 v5, 2, v5
	v_add_lshl_u32 v5, v5, v1, 2
	ds_bpermute_b32 v5, v5, v3
	v_cmp_lt_u32_e32 vcc, v7, v6
	v_add_u32_e32 v7, 8, v1
	s_waitcnt lgkmcnt(0)
	v_add_f32_e32 v5, v3, v5
	v_cndmask_b32_e32 v3, v3, v5, vcc
	v_cmp_gt_u32_e32 vcc, 56, v2
	v_cndmask_b32_e64 v5, 0, 1, vcc
	v_lshlrev_b32_e32 v5, 3, v5
	v_add_lshl_u32 v5, v5, v1, 2
	ds_bpermute_b32 v5, v5, v3
	v_cmp_lt_u32_e32 vcc, v7, v6
	v_add_u32_e32 v7, 16, v1
	s_waitcnt lgkmcnt(0)
	v_add_f32_e32 v5, v3, v5
	v_cndmask_b32_e32 v3, v3, v5, vcc
	v_cmp_gt_u32_e32 vcc, 48, v2
	v_cndmask_b32_e64 v5, 0, 1, vcc
	v_lshlrev_b32_e32 v5, 4, v5
	v_add_lshl_u32 v5, v5, v1, 2
	ds_bpermute_b32 v5, v5, v3
	v_cmp_lt_u32_e32 vcc, v7, v6
	s_waitcnt lgkmcnt(0)
	v_add_f32_e32 v5, v3, v5
	v_cndmask_b32_e32 v3, v3, v5, vcc
	v_cmp_gt_u32_e32 vcc, 32, v2
	v_cndmask_b32_e64 v2, 0, 1, vcc
	v_lshlrev_b32_e32 v2, 5, v2
	v_add_lshl_u32 v2, v2, v1, 2
	ds_bpermute_b32 v2, v2, v3
	v_add_u32_e32 v5, 32, v1
	v_cmp_lt_u32_e32 vcc, v5, v6
	s_waitcnt lgkmcnt(0)
	v_add_f32_e32 v2, v3, v2
	v_cndmask_b32_e32 v2, v3, v2, vcc
	v_cmp_eq_u32_e32 vcc, 0, v1
	s_and_saveexec_b64 s[2:3], vcc
	s_cbranch_execz .LBB6_8
; %bb.7:
	v_lshrrev_b32_e32 v3, 4, v0
	v_and_b32_e32 v3, 60, v3
	ds_write_b32 v3, v2
.LBB6_8:
	s_or_b64 exec, exec, s[2:3]
	v_cmp_gt_u32_e32 vcc, 16, v0
	s_waitcnt lgkmcnt(0)
	s_barrier
	s_and_saveexec_b64 s[6:7], vcc
	s_cbranch_execz .LBB6_10
; %bb.9:
	v_lshlrev_b32_e32 v2, 2, v1
	ds_read_b32 v2, v2
	v_and_b32_e32 v3, 15, v1
	v_cmp_ne_u32_e32 vcc, 15, v3
	v_addc_co_u32_e32 v5, vcc, 0, v1, vcc
	v_lshlrev_b32_e32 v5, 2, v5
	s_waitcnt lgkmcnt(0)
	ds_bpermute_b32 v5, v5, v2
	v_add_u32_e32 v6, 63, v4
	v_lshrrev_b32_e32 v6, 6, v6
	v_add_u32_e32 v7, 1, v3
	v_cmp_gt_u32_e64 s[2:3], 14, v3
	v_cmp_lt_u32_e32 vcc, v7, v6
	v_cndmask_b32_e64 v7, 0, 1, s[2:3]
	s_waitcnt lgkmcnt(0)
	v_add_f32_e32 v5, v2, v5
	v_lshlrev_b32_e32 v7, 1, v7
	v_cndmask_b32_e32 v5, v2, v5, vcc
	v_add_lshl_u32 v7, v7, v1, 2
	ds_bpermute_b32 v7, v7, v5
	v_add_u32_e32 v8, 2, v3
	v_cmp_lt_u32_e64 s[2:3], v8, v6
	v_add_u32_e32 v8, 4, v3
	s_waitcnt lgkmcnt(0)
	v_add_f32_e32 v7, v5, v7
	v_cndmask_b32_e64 v5, v5, v7, s[2:3]
	v_cmp_gt_u32_e64 s[2:3], 12, v3
	v_cndmask_b32_e64 v7, 0, 1, s[2:3]
	v_lshlrev_b32_e32 v7, 2, v7
	v_add_lshl_u32 v7, v7, v1, 2
	ds_bpermute_b32 v7, v7, v5
	v_cmp_lt_u32_e64 s[2:3], v8, v6
	s_waitcnt lgkmcnt(0)
	v_add_f32_e32 v7, v5, v7
	v_cndmask_b32_e64 v5, v5, v7, s[2:3]
	v_cmp_gt_u32_e64 s[2:3], 8, v3
	v_cndmask_b32_e64 v7, 0, 1, s[2:3]
	v_lshlrev_b32_e32 v7, 3, v7
	v_add_lshl_u32 v1, v7, v1, 2
	ds_bpermute_b32 v1, v1, v5
	v_add_u32_e32 v3, 8, v3
	v_cmp_lt_u32_e64 s[2:3], v3, v6
	s_waitcnt lgkmcnt(0)
	v_add_f32_e32 v1, v5, v1
	v_cndmask_b32_e64 v1, v5, v1, s[2:3]
	v_cndmask_b32_e32 v2, v2, v1, vcc
.LBB6_10:
	s_or_b64 exec, exec, s[6:7]
	v_cmp_eq_u32_e32 vcc, 0, v0
	s_and_saveexec_b64 s[2:3], vcc
	s_cbranch_execz .LBB6_12
; %bb.11:
	v_cvt_f32_i32_e32 v1, s14
	s_load_dword s6, s[4:5], 0x18
	v_div_scale_f32 v3, s[4:5], v1, v1, v2
	v_rcp_f32_e32 v5, v3
	v_div_scale_f32 v6, vcc, v2, v1, v2
	s_mov_b32 s4, 0x800000
	v_fma_f32 v7, -v3, v5, 1.0
	v_fmac_f32_e32 v5, v7, v5
	v_mul_f32_e32 v7, v6, v5
	v_fma_f32 v8, -v3, v7, v6
	v_fmac_f32_e32 v7, v8, v5
	v_fma_f32 v3, -v3, v7, v6
	v_div_fmas_f32 v3, v3, v5, v7
	v_div_fixup_f32 v1, v3, v1, v2
	s_waitcnt lgkmcnt(0)
	v_add_f32_e32 v1, s6, v1
	v_mul_f32_e32 v2, 0x4b800000, v1
	v_cmp_gt_f32_e32 vcc, s4, v1
	v_cndmask_b32_e32 v1, v1, v2, vcc
	v_rsq_f32_e32 v1, v1
	v_mul_f32_e32 v2, 0x45800000, v1
	v_cndmask_b32_e32 v1, v1, v2, vcc
	v_mov_b32_e32 v2, 0
	ds_write_b32 v2, v1 offset:64
.LBB6_12:
	s_or_b64 exec, exec, s[2:3]
	s_waitcnt lgkmcnt(0)
	s_barrier
	s_and_saveexec_b64 s[2:3], s[0:1]
	s_cbranch_execz .LBB6_15
; %bb.13:
	v_mov_b32_e32 v3, 0
	ds_read_b32 v5, v3 offset:64
	s_mov_b64 s[0:1], 0
	v_mov_b32_e32 v6, s11
	v_mov_b32_e32 v7, s13
	;; [unrolled: 1-line block ×3, first 2 shown]
.LBB6_14:                               ; =>This Inner Loop Header: Depth=1
	v_add_u32_e32 v2, s15, v0
	v_lshlrev_b64 v[10:11], 2, v[2:3]
	v_ashrrev_i32_e32 v1, 31, v0
	v_add_co_u32_e32 v14, vcc, s10, v10
	v_lshlrev_b64 v[12:13], 2, v[0:1]
	v_addc_co_u32_e32 v15, vcc, v6, v11, vcc
	v_add_co_u32_e32 v12, vcc, s12, v12
	v_addc_co_u32_e32 v13, vcc, v7, v13, vcc
	global_load_dword v1, v[14:15], off
	global_load_dword v2, v[12:13], off
	v_add_co_u32_e32 v10, vcc, s8, v10
	v_add_u32_e32 v0, v0, v4
	v_addc_co_u32_e32 v11, vcc, v8, v11, vcc
	v_cmp_le_i32_e32 vcc, s14, v0
	s_or_b64 s[0:1], vcc, s[0:1]
	s_waitcnt vmcnt(1) lgkmcnt(0)
	v_mul_f32_e32 v1, v1, v5
	s_waitcnt vmcnt(0)
	v_mul_f32_e32 v1, v1, v2
	global_store_dword v[10:11], v1, off
	s_andn2_b64 exec, exec, s[0:1]
	s_cbranch_execnz .LBB6_14
.LBB6_15:
	s_endpgm
	.section	.rodata,"a",@progbits
	.p2align	6, 0x0
	.amdhsa_kernel _ZN4vllm25fused_add_rms_norm_kernelIfLi0EEENSt9enable_ifIXooeqT0_Li0Entsr12_typeConvertIT_EE6existsEvE4typeEPS2_S5_PKS2_fii
		.amdhsa_group_segment_fixed_size 68
		.amdhsa_private_segment_fixed_size 0
		.amdhsa_kernarg_size 296
		.amdhsa_user_sgpr_count 6
		.amdhsa_user_sgpr_private_segment_buffer 1
		.amdhsa_user_sgpr_dispatch_ptr 0
		.amdhsa_user_sgpr_queue_ptr 0
		.amdhsa_user_sgpr_kernarg_segment_ptr 1
		.amdhsa_user_sgpr_dispatch_id 0
		.amdhsa_user_sgpr_flat_scratch_init 0
		.amdhsa_user_sgpr_kernarg_preload_length 0
		.amdhsa_user_sgpr_kernarg_preload_offset 0
		.amdhsa_user_sgpr_private_segment_size 0
		.amdhsa_uses_dynamic_stack 0
		.amdhsa_system_sgpr_private_segment_wavefront_offset 0
		.amdhsa_system_sgpr_workgroup_id_x 1
		.amdhsa_system_sgpr_workgroup_id_y 0
		.amdhsa_system_sgpr_workgroup_id_z 0
		.amdhsa_system_sgpr_workgroup_info 0
		.amdhsa_system_vgpr_workitem_id 0
		.amdhsa_next_free_vgpr 16
		.amdhsa_next_free_sgpr 17
		.amdhsa_accum_offset 16
		.amdhsa_reserve_vcc 1
		.amdhsa_reserve_flat_scratch 0
		.amdhsa_float_round_mode_32 0
		.amdhsa_float_round_mode_16_64 0
		.amdhsa_float_denorm_mode_32 3
		.amdhsa_float_denorm_mode_16_64 3
		.amdhsa_dx10_clamp 1
		.amdhsa_ieee_mode 1
		.amdhsa_fp16_overflow 0
		.amdhsa_tg_split 0
		.amdhsa_exception_fp_ieee_invalid_op 0
		.amdhsa_exception_fp_denorm_src 0
		.amdhsa_exception_fp_ieee_div_zero 0
		.amdhsa_exception_fp_ieee_overflow 0
		.amdhsa_exception_fp_ieee_underflow 0
		.amdhsa_exception_fp_ieee_inexact 0
		.amdhsa_exception_int_div_zero 0
	.end_amdhsa_kernel
	.section	.text._ZN4vllm25fused_add_rms_norm_kernelIfLi0EEENSt9enable_ifIXooeqT0_Li0Entsr12_typeConvertIT_EE6existsEvE4typeEPS2_S5_PKS2_fii,"axG",@progbits,_ZN4vllm25fused_add_rms_norm_kernelIfLi0EEENSt9enable_ifIXooeqT0_Li0Entsr12_typeConvertIT_EE6existsEvE4typeEPS2_S5_PKS2_fii,comdat
.Lfunc_end6:
	.size	_ZN4vllm25fused_add_rms_norm_kernelIfLi0EEENSt9enable_ifIXooeqT0_Li0Entsr12_typeConvertIT_EE6existsEvE4typeEPS2_S5_PKS2_fii, .Lfunc_end6-_ZN4vllm25fused_add_rms_norm_kernelIfLi0EEENSt9enable_ifIXooeqT0_Li0Entsr12_typeConvertIT_EE6existsEvE4typeEPS2_S5_PKS2_fii
                                        ; -- End function
	.section	.AMDGPU.csdata,"",@progbits
; Kernel info:
; codeLenInByte = 1212
; NumSgprs: 21
; NumVgprs: 16
; NumAgprs: 0
; TotalNumVgprs: 16
; ScratchSize: 0
; MemoryBound: 0
; FloatMode: 240
; IeeeMode: 1
; LDSByteSize: 68 bytes/workgroup (compile time only)
; SGPRBlocks: 2
; VGPRBlocks: 1
; NumSGPRsForWavesPerEU: 21
; NumVGPRsForWavesPerEU: 16
; AccumOffset: 16
; Occupancy: 8
; WaveLimiterHint : 0
; COMPUTE_PGM_RSRC2:SCRATCH_EN: 0
; COMPUTE_PGM_RSRC2:USER_SGPR: 6
; COMPUTE_PGM_RSRC2:TRAP_HANDLER: 0
; COMPUTE_PGM_RSRC2:TGID_X_EN: 1
; COMPUTE_PGM_RSRC2:TGID_Y_EN: 0
; COMPUTE_PGM_RSRC2:TGID_Z_EN: 0
; COMPUTE_PGM_RSRC2:TIDIG_COMP_CNT: 0
; COMPUTE_PGM_RSRC3_GFX90A:ACCUM_OFFSET: 3
; COMPUTE_PGM_RSRC3_GFX90A:TG_SPLIT: 0
	.section	.text._ZN4vllm25fused_add_rms_norm_kernelIN3c104HalfELi0EEENSt9enable_ifIXooeqT0_Li0Entsr12_typeConvertIT_EE6existsEvE4typeEPS4_S7_PKS4_fii,"axG",@progbits,_ZN4vllm25fused_add_rms_norm_kernelIN3c104HalfELi0EEENSt9enable_ifIXooeqT0_Li0Entsr12_typeConvertIT_EE6existsEvE4typeEPS4_S7_PKS4_fii,comdat
	.protected	_ZN4vllm25fused_add_rms_norm_kernelIN3c104HalfELi0EEENSt9enable_ifIXooeqT0_Li0Entsr12_typeConvertIT_EE6existsEvE4typeEPS4_S7_PKS4_fii ; -- Begin function _ZN4vllm25fused_add_rms_norm_kernelIN3c104HalfELi0EEENSt9enable_ifIXooeqT0_Li0Entsr12_typeConvertIT_EE6existsEvE4typeEPS4_S7_PKS4_fii
	.globl	_ZN4vllm25fused_add_rms_norm_kernelIN3c104HalfELi0EEENSt9enable_ifIXooeqT0_Li0Entsr12_typeConvertIT_EE6existsEvE4typeEPS4_S7_PKS4_fii
	.p2align	8
	.type	_ZN4vllm25fused_add_rms_norm_kernelIN3c104HalfELi0EEENSt9enable_ifIXooeqT0_Li0Entsr12_typeConvertIT_EE6existsEvE4typeEPS4_S7_PKS4_fii,@function
_ZN4vllm25fused_add_rms_norm_kernelIN3c104HalfELi0EEENSt9enable_ifIXooeqT0_Li0Entsr12_typeConvertIT_EE6existsEvE4typeEPS4_S7_PKS4_fii: ; @_ZN4vllm25fused_add_rms_norm_kernelIN3c104HalfELi0EEENSt9enable_ifIXooeqT0_Li0Entsr12_typeConvertIT_EE6existsEvE4typeEPS4_S7_PKS4_fii
; %bb.0:
	s_load_dword s14, s[4:5], 0x20
	s_load_dwordx4 s[8:11], s[4:5], 0x0
                                        ; implicit-def: $sgpr15
                                        ; implicit-def: $sgpr7
	s_waitcnt lgkmcnt(0)
	v_cmp_gt_i32_e64 s[0:1], s14, v0
	v_cmp_le_i32_e32 vcc, s14, v0
	s_and_saveexec_b64 s[2:3], vcc
	s_xor_b64 s[2:3], exec, s[2:3]
	s_cbranch_execz .LBB7_2
; %bb.1:
	s_load_dword s7, s[4:5], 0x34
	s_mov_b32 s15, 0
	s_waitcnt lgkmcnt(0)
	s_and_b32 s7, s7, 0xffff
.LBB7_2:
	s_or_saveexec_b64 s[2:3], s[2:3]
	s_load_dwordx2 s[12:13], s[4:5], 0x10
	v_mov_b32_e32 v5, s15
	v_mov_b32_e32 v4, s7
	s_mul_i32 s15, s6, s14
	s_xor_b64 exec, exec, s[2:3]
	s_cbranch_execz .LBB7_6
; %bb.3:
	s_load_dword s16, s[4:5], 0x34
	s_mov_b64 s[6:7], 0
	v_mov_b32_e32 v3, 0
	v_mov_b32_e32 v1, s9
	;; [unrolled: 1-line block ×3, first 2 shown]
	s_waitcnt lgkmcnt(0)
	s_and_b32 s16, s16, 0xffff
	v_mov_b32_e32 v5, 0
	v_mov_b32_e32 v6, v0
.LBB7_4:                                ; =>This Inner Loop Header: Depth=1
	v_add_u32_e32 v2, s15, v6
	v_lshlrev_b64 v[8:9], 1, v[2:3]
	v_add_co_u32_e32 v10, vcc, s8, v8
	v_addc_co_u32_e32 v11, vcc, v1, v9, vcc
	v_add_co_u32_e32 v8, vcc, s10, v8
	v_addc_co_u32_e32 v9, vcc, v4, v9, vcc
	global_load_ushort v2, v[10:11], off
	global_load_ushort v7, v[8:9], off
	v_add_u32_e32 v6, s16, v6
	v_cmp_le_i32_e32 vcc, s14, v6
	s_or_b64 s[6:7], vcc, s[6:7]
	s_waitcnt vmcnt(0)
	v_add_f16_e32 v2, v2, v7
	v_fma_mix_f32 v5, v2, v2, v5 op_sel_hi:[1,1,0]
	global_store_short v[8:9], v2, off
	s_andn2_b64 exec, exec, s[6:7]
	s_cbranch_execnz .LBB7_4
; %bb.5:
	s_or_b64 exec, exec, s[6:7]
	v_mov_b32_e32 v4, s16
.LBB7_6:
	s_or_b64 exec, exec, s[2:3]
	v_mbcnt_lo_u32_b32 v1, -1, 0
	v_mbcnt_hi_u32_b32 v1, -1, v1
	v_and_b32_e32 v2, 63, v1
	v_cmp_ne_u32_e32 vcc, 63, v2
	v_addc_co_u32_e32 v3, vcc, 0, v1, vcc
	v_lshlrev_b32_e32 v3, 2, v3
	ds_bpermute_b32 v3, v3, v5
	v_and_b32_e32 v6, 0x3c0, v0
	v_sub_u32_e64 v6, v4, v6 clamp
	v_add_u32_e32 v7, 1, v1
	v_cmp_lt_u32_e32 vcc, v7, v6
	s_waitcnt lgkmcnt(0)
	v_add_f32_e32 v3, v5, v3
	v_cndmask_b32_e32 v3, v5, v3, vcc
	v_cmp_gt_u32_e32 vcc, 62, v2
	v_cndmask_b32_e64 v5, 0, 1, vcc
	v_lshlrev_b32_e32 v5, 1, v5
	v_add_lshl_u32 v5, v5, v1, 2
	ds_bpermute_b32 v5, v5, v3
	v_add_u32_e32 v7, 2, v1
	v_cmp_lt_u32_e32 vcc, v7, v6
	v_add_u32_e32 v7, 4, v1
	s_waitcnt lgkmcnt(0)
	v_add_f32_e32 v5, v3, v5
	v_cndmask_b32_e32 v3, v3, v5, vcc
	v_cmp_gt_u32_e32 vcc, 60, v2
	v_cndmask_b32_e64 v5, 0, 1, vcc
	v_lshlrev_b32_e32 v5, 2, v5
	v_add_lshl_u32 v5, v5, v1, 2
	ds_bpermute_b32 v5, v5, v3
	v_cmp_lt_u32_e32 vcc, v7, v6
	v_add_u32_e32 v7, 8, v1
	s_waitcnt lgkmcnt(0)
	v_add_f32_e32 v5, v3, v5
	v_cndmask_b32_e32 v3, v3, v5, vcc
	v_cmp_gt_u32_e32 vcc, 56, v2
	v_cndmask_b32_e64 v5, 0, 1, vcc
	v_lshlrev_b32_e32 v5, 3, v5
	v_add_lshl_u32 v5, v5, v1, 2
	ds_bpermute_b32 v5, v5, v3
	;; [unrolled: 10-line block ×3, first 2 shown]
	v_cmp_lt_u32_e32 vcc, v7, v6
	s_waitcnt lgkmcnt(0)
	v_add_f32_e32 v5, v3, v5
	v_cndmask_b32_e32 v3, v3, v5, vcc
	v_cmp_gt_u32_e32 vcc, 32, v2
	v_cndmask_b32_e64 v2, 0, 1, vcc
	v_lshlrev_b32_e32 v2, 5, v2
	v_add_lshl_u32 v2, v2, v1, 2
	ds_bpermute_b32 v2, v2, v3
	v_add_u32_e32 v5, 32, v1
	v_cmp_lt_u32_e32 vcc, v5, v6
	s_waitcnt lgkmcnt(0)
	v_add_f32_e32 v2, v3, v2
	v_cndmask_b32_e32 v2, v3, v2, vcc
	v_cmp_eq_u32_e32 vcc, 0, v1
	s_and_saveexec_b64 s[2:3], vcc
	s_cbranch_execz .LBB7_8
; %bb.7:
	v_lshrrev_b32_e32 v3, 4, v0
	v_and_b32_e32 v3, 60, v3
	ds_write_b32 v3, v2
.LBB7_8:
	s_or_b64 exec, exec, s[2:3]
	v_cmp_gt_u32_e32 vcc, 16, v0
	s_waitcnt lgkmcnt(0)
	s_barrier
	s_and_saveexec_b64 s[6:7], vcc
	s_cbranch_execz .LBB7_10
; %bb.9:
	v_lshlrev_b32_e32 v2, 2, v1
	ds_read_b32 v2, v2
	v_and_b32_e32 v3, 15, v1
	v_cmp_ne_u32_e32 vcc, 15, v3
	v_addc_co_u32_e32 v5, vcc, 0, v1, vcc
	v_lshlrev_b32_e32 v5, 2, v5
	s_waitcnt lgkmcnt(0)
	ds_bpermute_b32 v5, v5, v2
	v_add_u32_e32 v6, 63, v4
	v_lshrrev_b32_e32 v6, 6, v6
	v_add_u32_e32 v7, 1, v3
	v_cmp_gt_u32_e64 s[2:3], 14, v3
	v_cmp_lt_u32_e32 vcc, v7, v6
	v_cndmask_b32_e64 v7, 0, 1, s[2:3]
	s_waitcnt lgkmcnt(0)
	v_add_f32_e32 v5, v2, v5
	v_lshlrev_b32_e32 v7, 1, v7
	v_cndmask_b32_e32 v5, v2, v5, vcc
	v_add_lshl_u32 v7, v7, v1, 2
	ds_bpermute_b32 v7, v7, v5
	v_add_u32_e32 v8, 2, v3
	v_cmp_lt_u32_e64 s[2:3], v8, v6
	v_add_u32_e32 v8, 4, v3
	s_waitcnt lgkmcnt(0)
	v_add_f32_e32 v7, v5, v7
	v_cndmask_b32_e64 v5, v5, v7, s[2:3]
	v_cmp_gt_u32_e64 s[2:3], 12, v3
	v_cndmask_b32_e64 v7, 0, 1, s[2:3]
	v_lshlrev_b32_e32 v7, 2, v7
	v_add_lshl_u32 v7, v7, v1, 2
	ds_bpermute_b32 v7, v7, v5
	v_cmp_lt_u32_e64 s[2:3], v8, v6
	s_waitcnt lgkmcnt(0)
	v_add_f32_e32 v7, v5, v7
	v_cndmask_b32_e64 v5, v5, v7, s[2:3]
	v_cmp_gt_u32_e64 s[2:3], 8, v3
	v_cndmask_b32_e64 v7, 0, 1, s[2:3]
	v_lshlrev_b32_e32 v7, 3, v7
	v_add_lshl_u32 v1, v7, v1, 2
	ds_bpermute_b32 v1, v1, v5
	v_add_u32_e32 v3, 8, v3
	v_cmp_lt_u32_e64 s[2:3], v3, v6
	s_waitcnt lgkmcnt(0)
	v_add_f32_e32 v1, v5, v1
	v_cndmask_b32_e64 v1, v5, v1, s[2:3]
	v_cndmask_b32_e32 v2, v2, v1, vcc
.LBB7_10:
	s_or_b64 exec, exec, s[6:7]
	v_cmp_eq_u32_e32 vcc, 0, v0
	s_and_saveexec_b64 s[2:3], vcc
	s_cbranch_execz .LBB7_12
; %bb.11:
	v_cvt_f32_i32_e32 v1, s14
	s_load_dword s6, s[4:5], 0x18
	v_div_scale_f32 v3, s[4:5], v1, v1, v2
	v_rcp_f32_e32 v5, v3
	v_div_scale_f32 v6, vcc, v2, v1, v2
	s_mov_b32 s4, 0x800000
	v_fma_f32 v7, -v3, v5, 1.0
	v_fmac_f32_e32 v5, v7, v5
	v_mul_f32_e32 v7, v6, v5
	v_fma_f32 v8, -v3, v7, v6
	v_fmac_f32_e32 v7, v8, v5
	v_fma_f32 v3, -v3, v7, v6
	v_div_fmas_f32 v3, v3, v5, v7
	v_div_fixup_f32 v1, v3, v1, v2
	s_waitcnt lgkmcnt(0)
	v_add_f32_e32 v1, s6, v1
	v_mul_f32_e32 v2, 0x4b800000, v1
	v_cmp_gt_f32_e32 vcc, s4, v1
	v_cndmask_b32_e32 v1, v1, v2, vcc
	v_rsq_f32_e32 v1, v1
	v_mul_f32_e32 v2, 0x45800000, v1
	v_cndmask_b32_e32 v1, v1, v2, vcc
	v_mov_b32_e32 v2, 0
	ds_write_b32 v2, v1 offset:64
.LBB7_12:
	s_or_b64 exec, exec, s[2:3]
	s_waitcnt lgkmcnt(0)
	s_barrier
	s_and_saveexec_b64 s[2:3], s[0:1]
	s_cbranch_execz .LBB7_15
; %bb.13:
	v_mov_b32_e32 v3, 0
	ds_read_b32 v5, v3 offset:64
	s_mov_b64 s[0:1], 0
	v_mov_b32_e32 v6, s11
	v_mov_b32_e32 v7, s13
	;; [unrolled: 1-line block ×3, first 2 shown]
.LBB7_14:                               ; =>This Inner Loop Header: Depth=1
	v_add_u32_e32 v2, s15, v0
	v_lshlrev_b64 v[10:11], 1, v[2:3]
	v_ashrrev_i32_e32 v1, 31, v0
	v_add_co_u32_e32 v14, vcc, s10, v10
	v_lshlrev_b64 v[12:13], 1, v[0:1]
	v_addc_co_u32_e32 v15, vcc, v6, v11, vcc
	v_add_co_u32_e32 v12, vcc, s12, v12
	v_addc_co_u32_e32 v13, vcc, v7, v13, vcc
	global_load_ushort v1, v[14:15], off
	global_load_ushort v2, v[12:13], off
	v_add_co_u32_e32 v10, vcc, s8, v10
	v_add_u32_e32 v0, v0, v4
	v_addc_co_u32_e32 v11, vcc, v8, v11, vcc
	v_cmp_le_i32_e32 vcc, s14, v0
	s_or_b64 s[0:1], vcc, s[0:1]
	s_waitcnt vmcnt(1) lgkmcnt(0)
	v_fma_mixlo_f16 v1, v5, v1, 0 op_sel_hi:[0,1,0]
	s_waitcnt vmcnt(0)
	v_mul_f16_e32 v1, v2, v1
	global_store_short v[10:11], v1, off
	s_andn2_b64 exec, exec, s[0:1]
	s_cbranch_execnz .LBB7_14
.LBB7_15:
	s_endpgm
	.section	.rodata,"a",@progbits
	.p2align	6, 0x0
	.amdhsa_kernel _ZN4vllm25fused_add_rms_norm_kernelIN3c104HalfELi0EEENSt9enable_ifIXooeqT0_Li0Entsr12_typeConvertIT_EE6existsEvE4typeEPS4_S7_PKS4_fii
		.amdhsa_group_segment_fixed_size 68
		.amdhsa_private_segment_fixed_size 0
		.amdhsa_kernarg_size 296
		.amdhsa_user_sgpr_count 6
		.amdhsa_user_sgpr_private_segment_buffer 1
		.amdhsa_user_sgpr_dispatch_ptr 0
		.amdhsa_user_sgpr_queue_ptr 0
		.amdhsa_user_sgpr_kernarg_segment_ptr 1
		.amdhsa_user_sgpr_dispatch_id 0
		.amdhsa_user_sgpr_flat_scratch_init 0
		.amdhsa_user_sgpr_kernarg_preload_length 0
		.amdhsa_user_sgpr_kernarg_preload_offset 0
		.amdhsa_user_sgpr_private_segment_size 0
		.amdhsa_uses_dynamic_stack 0
		.amdhsa_system_sgpr_private_segment_wavefront_offset 0
		.amdhsa_system_sgpr_workgroup_id_x 1
		.amdhsa_system_sgpr_workgroup_id_y 0
		.amdhsa_system_sgpr_workgroup_id_z 0
		.amdhsa_system_sgpr_workgroup_info 0
		.amdhsa_system_vgpr_workitem_id 0
		.amdhsa_next_free_vgpr 16
		.amdhsa_next_free_sgpr 17
		.amdhsa_accum_offset 16
		.amdhsa_reserve_vcc 1
		.amdhsa_reserve_flat_scratch 0
		.amdhsa_float_round_mode_32 0
		.amdhsa_float_round_mode_16_64 0
		.amdhsa_float_denorm_mode_32 3
		.amdhsa_float_denorm_mode_16_64 3
		.amdhsa_dx10_clamp 1
		.amdhsa_ieee_mode 1
		.amdhsa_fp16_overflow 0
		.amdhsa_tg_split 0
		.amdhsa_exception_fp_ieee_invalid_op 0
		.amdhsa_exception_fp_denorm_src 0
		.amdhsa_exception_fp_ieee_div_zero 0
		.amdhsa_exception_fp_ieee_overflow 0
		.amdhsa_exception_fp_ieee_underflow 0
		.amdhsa_exception_fp_ieee_inexact 0
		.amdhsa_exception_int_div_zero 0
	.end_amdhsa_kernel
	.section	.text._ZN4vllm25fused_add_rms_norm_kernelIN3c104HalfELi0EEENSt9enable_ifIXooeqT0_Li0Entsr12_typeConvertIT_EE6existsEvE4typeEPS4_S7_PKS4_fii,"axG",@progbits,_ZN4vllm25fused_add_rms_norm_kernelIN3c104HalfELi0EEENSt9enable_ifIXooeqT0_Li0Entsr12_typeConvertIT_EE6existsEvE4typeEPS4_S7_PKS4_fii,comdat
.Lfunc_end7:
	.size	_ZN4vllm25fused_add_rms_norm_kernelIN3c104HalfELi0EEENSt9enable_ifIXooeqT0_Li0Entsr12_typeConvertIT_EE6existsEvE4typeEPS4_S7_PKS4_fii, .Lfunc_end7-_ZN4vllm25fused_add_rms_norm_kernelIN3c104HalfELi0EEENSt9enable_ifIXooeqT0_Li0Entsr12_typeConvertIT_EE6existsEvE4typeEPS4_S7_PKS4_fii
                                        ; -- End function
	.section	.AMDGPU.csdata,"",@progbits
; Kernel info:
; codeLenInByte = 1220
; NumSgprs: 21
; NumVgprs: 16
; NumAgprs: 0
; TotalNumVgprs: 16
; ScratchSize: 0
; MemoryBound: 0
; FloatMode: 240
; IeeeMode: 1
; LDSByteSize: 68 bytes/workgroup (compile time only)
; SGPRBlocks: 2
; VGPRBlocks: 1
; NumSGPRsForWavesPerEU: 21
; NumVGPRsForWavesPerEU: 16
; AccumOffset: 16
; Occupancy: 8
; WaveLimiterHint : 0
; COMPUTE_PGM_RSRC2:SCRATCH_EN: 0
; COMPUTE_PGM_RSRC2:USER_SGPR: 6
; COMPUTE_PGM_RSRC2:TRAP_HANDLER: 0
; COMPUTE_PGM_RSRC2:TGID_X_EN: 1
; COMPUTE_PGM_RSRC2:TGID_Y_EN: 0
; COMPUTE_PGM_RSRC2:TGID_Z_EN: 0
; COMPUTE_PGM_RSRC2:TIDIG_COMP_CNT: 0
; COMPUTE_PGM_RSRC3_GFX90A:ACCUM_OFFSET: 3
; COMPUTE_PGM_RSRC3_GFX90A:TG_SPLIT: 0
	.section	.text._ZN4vllm25fused_add_rms_norm_kernelIN3c108BFloat16ELi0EEENSt9enable_ifIXooeqT0_Li0Entsr12_typeConvertIT_EE6existsEvE4typeEPS4_S7_PKS4_fii,"axG",@progbits,_ZN4vllm25fused_add_rms_norm_kernelIN3c108BFloat16ELi0EEENSt9enable_ifIXooeqT0_Li0Entsr12_typeConvertIT_EE6existsEvE4typeEPS4_S7_PKS4_fii,comdat
	.protected	_ZN4vllm25fused_add_rms_norm_kernelIN3c108BFloat16ELi0EEENSt9enable_ifIXooeqT0_Li0Entsr12_typeConvertIT_EE6existsEvE4typeEPS4_S7_PKS4_fii ; -- Begin function _ZN4vllm25fused_add_rms_norm_kernelIN3c108BFloat16ELi0EEENSt9enable_ifIXooeqT0_Li0Entsr12_typeConvertIT_EE6existsEvE4typeEPS4_S7_PKS4_fii
	.globl	_ZN4vllm25fused_add_rms_norm_kernelIN3c108BFloat16ELi0EEENSt9enable_ifIXooeqT0_Li0Entsr12_typeConvertIT_EE6existsEvE4typeEPS4_S7_PKS4_fii
	.p2align	8
	.type	_ZN4vllm25fused_add_rms_norm_kernelIN3c108BFloat16ELi0EEENSt9enable_ifIXooeqT0_Li0Entsr12_typeConvertIT_EE6existsEvE4typeEPS4_S7_PKS4_fii,@function
_ZN4vllm25fused_add_rms_norm_kernelIN3c108BFloat16ELi0EEENSt9enable_ifIXooeqT0_Li0Entsr12_typeConvertIT_EE6existsEvE4typeEPS4_S7_PKS4_fii: ; @_ZN4vllm25fused_add_rms_norm_kernelIN3c108BFloat16ELi0EEENSt9enable_ifIXooeqT0_Li0Entsr12_typeConvertIT_EE6existsEvE4typeEPS4_S7_PKS4_fii
; %bb.0:
	s_load_dword s14, s[4:5], 0x20
	s_load_dwordx4 s[8:11], s[4:5], 0x0
                                        ; implicit-def: $sgpr15
                                        ; implicit-def: $sgpr7
	s_waitcnt lgkmcnt(0)
	v_cmp_gt_i32_e64 s[0:1], s14, v0
	v_cmp_le_i32_e32 vcc, s14, v0
	s_and_saveexec_b64 s[2:3], vcc
	s_xor_b64 s[2:3], exec, s[2:3]
	s_cbranch_execz .LBB8_2
; %bb.1:
	s_load_dword s7, s[4:5], 0x34
	s_mov_b32 s15, 0
	s_waitcnt lgkmcnt(0)
	s_and_b32 s7, s7, 0xffff
.LBB8_2:
	s_or_saveexec_b64 s[2:3], s[2:3]
	s_load_dwordx2 s[12:13], s[4:5], 0x10
	v_mov_b32_e32 v5, s15
	v_mov_b32_e32 v4, s7
	s_mul_i32 s15, s6, s14
	s_xor_b64 exec, exec, s[2:3]
	s_cbranch_execz .LBB8_6
; %bb.3:
	s_load_dword s16, s[4:5], 0x34
	s_mov_b64 s[6:7], 0
	v_mov_b32_e32 v3, 0
	v_mov_b32_e32 v1, s9
	;; [unrolled: 1-line block ×3, first 2 shown]
	s_waitcnt lgkmcnt(0)
	s_and_b32 s16, s16, 0xffff
	s_movk_i32 s17, 0x7fff
	v_mov_b32_e32 v6, 0x7fc0
	v_mov_b32_e32 v5, 0
	;; [unrolled: 1-line block ×3, first 2 shown]
.LBB8_4:                                ; =>This Inner Loop Header: Depth=1
	v_add_u32_e32 v2, s15, v7
	v_lshlrev_b64 v[8:9], 1, v[2:3]
	v_add_co_u32_e32 v10, vcc, s8, v8
	v_addc_co_u32_e32 v11, vcc, v1, v9, vcc
	v_add_co_u32_e32 v8, vcc, s10, v8
	v_addc_co_u32_e32 v9, vcc, v4, v9, vcc
	global_load_ushort v2, v[10:11], off
	global_load_ushort v12, v[8:9], off
	v_add_u32_e32 v7, s16, v7
	v_cmp_le_i32_e32 vcc, s14, v7
	s_or_b64 s[6:7], vcc, s[6:7]
	s_waitcnt vmcnt(1)
	v_lshrrev_b16_e32 v10, 8, v2
	v_and_b32_e32 v2, 0xff, v2
	s_waitcnt vmcnt(0)
	v_lshrrev_b16_e32 v11, 8, v12
	v_and_b32_e32 v12, 0xff, v12
	v_lshlrev_b32_e32 v2, 16, v2
	v_lshlrev_b32_e32 v12, 16, v12
	v_lshl_or_b32 v2, v10, 24, v2
	v_lshl_or_b32 v10, v11, 24, v12
	v_add_f32_e32 v2, v2, v10
	v_bfe_u32 v10, v2, 16, 1
	v_add3_u32 v10, v2, v10, s17
	v_lshrrev_b32_e32 v10, 16, v10
	v_cmp_o_f32_e32 vcc, v2, v2
	v_cndmask_b32_e32 v2, v6, v10, vcc
	v_and_b32_e32 v11, 0xff, v2
	v_lshrrev_b16_e32 v10, 8, v2
	global_store_short v[8:9], v2, off
	v_lshlrev_b32_e32 v2, 16, v11
	v_lshl_or_b32 v2, v10, 24, v2
	v_fmac_f32_e32 v5, v2, v2
	s_andn2_b64 exec, exec, s[6:7]
	s_cbranch_execnz .LBB8_4
; %bb.5:
	s_or_b64 exec, exec, s[6:7]
	v_mov_b32_e32 v4, s16
.LBB8_6:
	s_or_b64 exec, exec, s[2:3]
	v_mbcnt_lo_u32_b32 v1, -1, 0
	v_mbcnt_hi_u32_b32 v1, -1, v1
	v_and_b32_e32 v2, 63, v1
	v_cmp_ne_u32_e32 vcc, 63, v2
	v_addc_co_u32_e32 v3, vcc, 0, v1, vcc
	v_lshlrev_b32_e32 v3, 2, v3
	ds_bpermute_b32 v3, v3, v5
	v_and_b32_e32 v6, 0x3c0, v0
	v_sub_u32_e64 v6, v4, v6 clamp
	v_add_u32_e32 v7, 1, v1
	v_cmp_lt_u32_e32 vcc, v7, v6
	s_waitcnt lgkmcnt(0)
	v_add_f32_e32 v3, v5, v3
	v_cndmask_b32_e32 v3, v5, v3, vcc
	v_cmp_gt_u32_e32 vcc, 62, v2
	v_cndmask_b32_e64 v5, 0, 1, vcc
	v_lshlrev_b32_e32 v5, 1, v5
	v_add_lshl_u32 v5, v5, v1, 2
	ds_bpermute_b32 v5, v5, v3
	v_add_u32_e32 v7, 2, v1
	v_cmp_lt_u32_e32 vcc, v7, v6
	v_add_u32_e32 v7, 4, v1
	s_waitcnt lgkmcnt(0)
	v_add_f32_e32 v5, v3, v5
	v_cndmask_b32_e32 v3, v3, v5, vcc
	v_cmp_gt_u32_e32 vcc, 60, v2
	v_cndmask_b32_e64 v5, 0, 1, vcc
	v_lshlrev_b32_e32 v5, 2, v5
	v_add_lshl_u32 v5, v5, v1, 2
	ds_bpermute_b32 v5, v5, v3
	v_cmp_lt_u32_e32 vcc, v7, v6
	v_add_u32_e32 v7, 8, v1
	s_waitcnt lgkmcnt(0)
	v_add_f32_e32 v5, v3, v5
	v_cndmask_b32_e32 v3, v3, v5, vcc
	v_cmp_gt_u32_e32 vcc, 56, v2
	v_cndmask_b32_e64 v5, 0, 1, vcc
	v_lshlrev_b32_e32 v5, 3, v5
	v_add_lshl_u32 v5, v5, v1, 2
	ds_bpermute_b32 v5, v5, v3
	;; [unrolled: 10-line block ×3, first 2 shown]
	v_cmp_lt_u32_e32 vcc, v7, v6
	s_waitcnt lgkmcnt(0)
	v_add_f32_e32 v5, v3, v5
	v_cndmask_b32_e32 v3, v3, v5, vcc
	v_cmp_gt_u32_e32 vcc, 32, v2
	v_cndmask_b32_e64 v2, 0, 1, vcc
	v_lshlrev_b32_e32 v2, 5, v2
	v_add_lshl_u32 v2, v2, v1, 2
	ds_bpermute_b32 v2, v2, v3
	v_add_u32_e32 v5, 32, v1
	v_cmp_lt_u32_e32 vcc, v5, v6
	s_waitcnt lgkmcnt(0)
	v_add_f32_e32 v2, v3, v2
	v_cndmask_b32_e32 v2, v3, v2, vcc
	v_cmp_eq_u32_e32 vcc, 0, v1
	s_and_saveexec_b64 s[2:3], vcc
	s_cbranch_execz .LBB8_8
; %bb.7:
	v_lshrrev_b32_e32 v3, 4, v0
	v_and_b32_e32 v3, 60, v3
	ds_write_b32 v3, v2
.LBB8_8:
	s_or_b64 exec, exec, s[2:3]
	v_cmp_gt_u32_e32 vcc, 16, v0
	s_waitcnt lgkmcnt(0)
	s_barrier
	s_and_saveexec_b64 s[6:7], vcc
	s_cbranch_execz .LBB8_10
; %bb.9:
	v_lshlrev_b32_e32 v2, 2, v1
	ds_read_b32 v2, v2
	v_and_b32_e32 v3, 15, v1
	v_cmp_ne_u32_e32 vcc, 15, v3
	v_addc_co_u32_e32 v5, vcc, 0, v1, vcc
	v_lshlrev_b32_e32 v5, 2, v5
	s_waitcnt lgkmcnt(0)
	ds_bpermute_b32 v5, v5, v2
	v_add_u32_e32 v6, 63, v4
	v_lshrrev_b32_e32 v6, 6, v6
	v_add_u32_e32 v7, 1, v3
	v_cmp_gt_u32_e64 s[2:3], 14, v3
	v_cmp_lt_u32_e32 vcc, v7, v6
	v_cndmask_b32_e64 v7, 0, 1, s[2:3]
	s_waitcnt lgkmcnt(0)
	v_add_f32_e32 v5, v2, v5
	v_lshlrev_b32_e32 v7, 1, v7
	v_cndmask_b32_e32 v5, v2, v5, vcc
	v_add_lshl_u32 v7, v7, v1, 2
	ds_bpermute_b32 v7, v7, v5
	v_add_u32_e32 v8, 2, v3
	v_cmp_lt_u32_e64 s[2:3], v8, v6
	v_add_u32_e32 v8, 4, v3
	s_waitcnt lgkmcnt(0)
	v_add_f32_e32 v7, v5, v7
	v_cndmask_b32_e64 v5, v5, v7, s[2:3]
	v_cmp_gt_u32_e64 s[2:3], 12, v3
	v_cndmask_b32_e64 v7, 0, 1, s[2:3]
	v_lshlrev_b32_e32 v7, 2, v7
	v_add_lshl_u32 v7, v7, v1, 2
	ds_bpermute_b32 v7, v7, v5
	v_cmp_lt_u32_e64 s[2:3], v8, v6
	s_waitcnt lgkmcnt(0)
	v_add_f32_e32 v7, v5, v7
	v_cndmask_b32_e64 v5, v5, v7, s[2:3]
	v_cmp_gt_u32_e64 s[2:3], 8, v3
	v_cndmask_b32_e64 v7, 0, 1, s[2:3]
	v_lshlrev_b32_e32 v7, 3, v7
	v_add_lshl_u32 v1, v7, v1, 2
	ds_bpermute_b32 v1, v1, v5
	v_add_u32_e32 v3, 8, v3
	v_cmp_lt_u32_e64 s[2:3], v3, v6
	s_waitcnt lgkmcnt(0)
	v_add_f32_e32 v1, v5, v1
	v_cndmask_b32_e64 v1, v5, v1, s[2:3]
	v_cndmask_b32_e32 v2, v2, v1, vcc
.LBB8_10:
	s_or_b64 exec, exec, s[6:7]
	v_cmp_eq_u32_e32 vcc, 0, v0
	s_and_saveexec_b64 s[2:3], vcc
	s_cbranch_execz .LBB8_12
; %bb.11:
	v_cvt_f32_i32_e32 v1, s14
	s_load_dword s6, s[4:5], 0x18
	v_div_scale_f32 v3, s[4:5], v1, v1, v2
	v_rcp_f32_e32 v5, v3
	v_div_scale_f32 v6, vcc, v2, v1, v2
	s_mov_b32 s4, 0x800000
	v_fma_f32 v7, -v3, v5, 1.0
	v_fmac_f32_e32 v5, v7, v5
	v_mul_f32_e32 v7, v6, v5
	v_fma_f32 v8, -v3, v7, v6
	v_fmac_f32_e32 v7, v8, v5
	v_fma_f32 v3, -v3, v7, v6
	v_div_fmas_f32 v3, v3, v5, v7
	v_div_fixup_f32 v1, v3, v1, v2
	s_waitcnt lgkmcnt(0)
	v_add_f32_e32 v1, s6, v1
	v_mul_f32_e32 v2, 0x4b800000, v1
	v_cmp_gt_f32_e32 vcc, s4, v1
	v_cndmask_b32_e32 v1, v1, v2, vcc
	v_rsq_f32_e32 v1, v1
	v_mul_f32_e32 v2, 0x45800000, v1
	v_cndmask_b32_e32 v1, v1, v2, vcc
	v_mov_b32_e32 v2, 0
	ds_write_b32 v2, v1 offset:64
.LBB8_12:
	s_or_b64 exec, exec, s[2:3]
	s_waitcnt lgkmcnt(0)
	s_barrier
	s_and_saveexec_b64 s[2:3], s[0:1]
	s_cbranch_execz .LBB8_15
; %bb.13:
	v_mov_b32_e32 v3, 0
	ds_read_b32 v5, v3 offset:64
	s_mov_b64 s[0:1], 0
	v_mov_b32_e32 v6, s11
	s_movk_i32 s2, 0x7fff
	v_mov_b32_e32 v7, 0x7fc0
	v_mov_b32_e32 v8, s13
	;; [unrolled: 1-line block ×3, first 2 shown]
.LBB8_14:                               ; =>This Inner Loop Header: Depth=1
	v_add_u32_e32 v2, s15, v0
	v_lshlrev_b64 v[10:11], 1, v[2:3]
	v_ashrrev_i32_e32 v1, 31, v0
	v_add_co_u32_e32 v14, vcc, s10, v10
	v_lshlrev_b64 v[12:13], 1, v[0:1]
	v_addc_co_u32_e32 v15, vcc, v6, v11, vcc
	v_add_co_u32_e32 v12, vcc, s12, v12
	v_addc_co_u32_e32 v13, vcc, v8, v13, vcc
	global_load_ushort v1, v[14:15], off
	global_load_ushort v2, v[12:13], off
	v_add_co_u32_e32 v10, vcc, s8, v10
	v_add_u32_e32 v0, v0, v4
	v_addc_co_u32_e32 v11, vcc, v9, v11, vcc
	v_cmp_le_i32_e32 vcc, s14, v0
	s_or_b64 s[0:1], vcc, s[0:1]
	s_waitcnt vmcnt(1)
	v_lshrrev_b16_e32 v12, 8, v1
	v_and_b32_e32 v1, 0xff, v1
	v_lshlrev_b32_e32 v1, 16, v1
	v_lshl_or_b32 v1, v12, 24, v1
	s_waitcnt lgkmcnt(0)
	v_mul_f32_e32 v1, v5, v1
	v_bfe_u32 v12, v1, 16, 1
	v_add3_u32 v12, v1, v12, s2
	v_lshrrev_b32_e32 v12, 16, v12
	v_cmp_o_f32_e32 vcc, v1, v1
	v_cndmask_b32_e32 v1, v7, v12, vcc
	s_waitcnt vmcnt(0)
	v_lshrrev_b16_e32 v13, 8, v2
	v_and_b32_e32 v2, 0xff, v2
	v_lshrrev_b16_e32 v12, 8, v1
	v_and_b32_e32 v1, 0xff, v1
	v_lshlrev_b32_e32 v2, 16, v2
	v_lshlrev_b32_e32 v1, 16, v1
	v_lshl_or_b32 v2, v13, 24, v2
	v_lshl_or_b32 v1, v12, 24, v1
	v_mul_f32_e32 v1, v2, v1
	v_bfe_u32 v2, v1, 16, 1
	v_add3_u32 v2, v1, v2, s2
	v_lshrrev_b32_e32 v2, 16, v2
	v_cmp_o_f32_e32 vcc, v1, v1
	v_cndmask_b32_e32 v1, v7, v2, vcc
	global_store_short v[10:11], v1, off
	s_andn2_b64 exec, exec, s[0:1]
	s_cbranch_execnz .LBB8_14
.LBB8_15:
	s_endpgm
	.section	.rodata,"a",@progbits
	.p2align	6, 0x0
	.amdhsa_kernel _ZN4vllm25fused_add_rms_norm_kernelIN3c108BFloat16ELi0EEENSt9enable_ifIXooeqT0_Li0Entsr12_typeConvertIT_EE6existsEvE4typeEPS4_S7_PKS4_fii
		.amdhsa_group_segment_fixed_size 68
		.amdhsa_private_segment_fixed_size 0
		.amdhsa_kernarg_size 296
		.amdhsa_user_sgpr_count 6
		.amdhsa_user_sgpr_private_segment_buffer 1
		.amdhsa_user_sgpr_dispatch_ptr 0
		.amdhsa_user_sgpr_queue_ptr 0
		.amdhsa_user_sgpr_kernarg_segment_ptr 1
		.amdhsa_user_sgpr_dispatch_id 0
		.amdhsa_user_sgpr_flat_scratch_init 0
		.amdhsa_user_sgpr_kernarg_preload_length 0
		.amdhsa_user_sgpr_kernarg_preload_offset 0
		.amdhsa_user_sgpr_private_segment_size 0
		.amdhsa_uses_dynamic_stack 0
		.amdhsa_system_sgpr_private_segment_wavefront_offset 0
		.amdhsa_system_sgpr_workgroup_id_x 1
		.amdhsa_system_sgpr_workgroup_id_y 0
		.amdhsa_system_sgpr_workgroup_id_z 0
		.amdhsa_system_sgpr_workgroup_info 0
		.amdhsa_system_vgpr_workitem_id 0
		.amdhsa_next_free_vgpr 16
		.amdhsa_next_free_sgpr 18
		.amdhsa_accum_offset 16
		.amdhsa_reserve_vcc 1
		.amdhsa_reserve_flat_scratch 0
		.amdhsa_float_round_mode_32 0
		.amdhsa_float_round_mode_16_64 0
		.amdhsa_float_denorm_mode_32 3
		.amdhsa_float_denorm_mode_16_64 3
		.amdhsa_dx10_clamp 1
		.amdhsa_ieee_mode 1
		.amdhsa_fp16_overflow 0
		.amdhsa_tg_split 0
		.amdhsa_exception_fp_ieee_invalid_op 0
		.amdhsa_exception_fp_denorm_src 0
		.amdhsa_exception_fp_ieee_div_zero 0
		.amdhsa_exception_fp_ieee_overflow 0
		.amdhsa_exception_fp_ieee_underflow 0
		.amdhsa_exception_fp_ieee_inexact 0
		.amdhsa_exception_int_div_zero 0
	.end_amdhsa_kernel
	.section	.text._ZN4vllm25fused_add_rms_norm_kernelIN3c108BFloat16ELi0EEENSt9enable_ifIXooeqT0_Li0Entsr12_typeConvertIT_EE6existsEvE4typeEPS4_S7_PKS4_fii,"axG",@progbits,_ZN4vllm25fused_add_rms_norm_kernelIN3c108BFloat16ELi0EEENSt9enable_ifIXooeqT0_Li0Entsr12_typeConvertIT_EE6existsEvE4typeEPS4_S7_PKS4_fii,comdat
.Lfunc_end8:
	.size	_ZN4vllm25fused_add_rms_norm_kernelIN3c108BFloat16ELi0EEENSt9enable_ifIXooeqT0_Li0Entsr12_typeConvertIT_EE6existsEvE4typeEPS4_S7_PKS4_fii, .Lfunc_end8-_ZN4vllm25fused_add_rms_norm_kernelIN3c108BFloat16ELi0EEENSt9enable_ifIXooeqT0_Li0Entsr12_typeConvertIT_EE6existsEvE4typeEPS4_S7_PKS4_fii
                                        ; -- End function
	.section	.AMDGPU.csdata,"",@progbits
; Kernel info:
; codeLenInByte = 1472
; NumSgprs: 22
; NumVgprs: 16
; NumAgprs: 0
; TotalNumVgprs: 16
; ScratchSize: 0
; MemoryBound: 0
; FloatMode: 240
; IeeeMode: 1
; LDSByteSize: 68 bytes/workgroup (compile time only)
; SGPRBlocks: 2
; VGPRBlocks: 1
; NumSGPRsForWavesPerEU: 22
; NumVGPRsForWavesPerEU: 16
; AccumOffset: 16
; Occupancy: 8
; WaveLimiterHint : 0
; COMPUTE_PGM_RSRC2:SCRATCH_EN: 0
; COMPUTE_PGM_RSRC2:USER_SGPR: 6
; COMPUTE_PGM_RSRC2:TRAP_HANDLER: 0
; COMPUTE_PGM_RSRC2:TGID_X_EN: 1
; COMPUTE_PGM_RSRC2:TGID_Y_EN: 0
; COMPUTE_PGM_RSRC2:TGID_Z_EN: 0
; COMPUTE_PGM_RSRC2:TIDIG_COMP_CNT: 0
; COMPUTE_PGM_RSRC3_GFX90A:ACCUM_OFFSET: 3
; COMPUTE_PGM_RSRC3_GFX90A:TG_SPLIT: 0
	.text
	.p2alignl 6, 3212836864
	.fill 256, 4, 3212836864
	.type	__hip_cuid_8f6e5deaa553801d,@object ; @__hip_cuid_8f6e5deaa553801d
	.section	.bss,"aw",@nobits
	.globl	__hip_cuid_8f6e5deaa553801d
__hip_cuid_8f6e5deaa553801d:
	.byte	0                               ; 0x0
	.size	__hip_cuid_8f6e5deaa553801d, 1

	.ident	"AMD clang version 19.0.0git (https://github.com/RadeonOpenCompute/llvm-project roc-6.4.0 25133 c7fe45cf4b819c5991fe208aaa96edf142730f1d)"
	.section	".note.GNU-stack","",@progbits
	.addrsig
	.addrsig_sym __hip_cuid_8f6e5deaa553801d
	.amdgpu_metadata
---
amdhsa.kernels:
  - .agpr_count:     0
    .args:
      - .actual_access:  write_only
        .address_space:  global
        .offset:         0
        .size:           8
        .value_kind:     global_buffer
      - .actual_access:  read_only
        .address_space:  global
        .offset:         8
        .size:           8
        .value_kind:     global_buffer
      - .actual_access:  read_only
        .address_space:  global
        .offset:         16
        .size:           8
        .value_kind:     global_buffer
      - .offset:         24
        .size:           4
        .value_kind:     by_value
      - .offset:         28
        .size:           4
        .value_kind:     by_value
      - .offset:         32
        .size:           4
        .value_kind:     by_value
      - .offset:         40
        .size:           4
        .value_kind:     hidden_block_count_x
      - .offset:         44
        .size:           4
        .value_kind:     hidden_block_count_y
      - .offset:         48
        .size:           4
        .value_kind:     hidden_block_count_z
      - .offset:         52
        .size:           2
        .value_kind:     hidden_group_size_x
      - .offset:         54
        .size:           2
        .value_kind:     hidden_group_size_y
      - .offset:         56
        .size:           2
        .value_kind:     hidden_group_size_z
      - .offset:         58
        .size:           2
        .value_kind:     hidden_remainder_x
      - .offset:         60
        .size:           2
        .value_kind:     hidden_remainder_y
      - .offset:         62
        .size:           2
        .value_kind:     hidden_remainder_z
      - .offset:         80
        .size:           8
        .value_kind:     hidden_global_offset_x
      - .offset:         88
        .size:           8
        .value_kind:     hidden_global_offset_y
      - .offset:         96
        .size:           8
        .value_kind:     hidden_global_offset_z
      - .offset:         104
        .size:           2
        .value_kind:     hidden_grid_dims
    .group_segment_fixed_size: 68
    .kernarg_segment_align: 8
    .kernarg_segment_size: 296
    .language:       OpenCL C
    .language_version:
      - 2
      - 0
    .max_flat_workgroup_size: 1024
    .name:           _ZN4vllm15rms_norm_kernelIfEEvPT_PKS1_S4_fii
    .private_segment_fixed_size: 0
    .sgpr_count:     34
    .sgpr_spill_count: 0
    .symbol:         _ZN4vllm15rms_norm_kernelIfEEvPT_PKS1_S4_fii.kd
    .uniform_work_group_size: 1
    .uses_dynamic_stack: false
    .vgpr_count:     60
    .vgpr_spill_count: 0
    .wavefront_size: 64
  - .agpr_count:     0
    .args:
      - .actual_access:  write_only
        .address_space:  global
        .offset:         0
        .size:           8
        .value_kind:     global_buffer
      - .actual_access:  read_only
        .address_space:  global
        .offset:         8
        .size:           8
        .value_kind:     global_buffer
      - .actual_access:  read_only
        .address_space:  global
        .offset:         16
        .size:           8
        .value_kind:     global_buffer
      - .offset:         24
        .size:           4
        .value_kind:     by_value
      - .offset:         28
        .size:           4
        .value_kind:     by_value
      - .offset:         32
        .size:           4
        .value_kind:     by_value
      - .offset:         40
        .size:           4
        .value_kind:     hidden_block_count_x
      - .offset:         44
        .size:           4
        .value_kind:     hidden_block_count_y
      - .offset:         48
        .size:           4
        .value_kind:     hidden_block_count_z
      - .offset:         52
        .size:           2
        .value_kind:     hidden_group_size_x
      - .offset:         54
        .size:           2
        .value_kind:     hidden_group_size_y
      - .offset:         56
        .size:           2
        .value_kind:     hidden_group_size_z
      - .offset:         58
        .size:           2
        .value_kind:     hidden_remainder_x
      - .offset:         60
        .size:           2
        .value_kind:     hidden_remainder_y
      - .offset:         62
        .size:           2
        .value_kind:     hidden_remainder_z
      - .offset:         80
        .size:           8
        .value_kind:     hidden_global_offset_x
      - .offset:         88
        .size:           8
        .value_kind:     hidden_global_offset_y
      - .offset:         96
        .size:           8
        .value_kind:     hidden_global_offset_z
      - .offset:         104
        .size:           2
        .value_kind:     hidden_grid_dims
    .group_segment_fixed_size: 68
    .kernarg_segment_align: 8
    .kernarg_segment_size: 296
    .language:       OpenCL C
    .language_version:
      - 2
      - 0
    .max_flat_workgroup_size: 1024
    .name:           _ZN4vllm15rms_norm_kernelIN3c104HalfEEEvPT_PKS3_S6_fii
    .private_segment_fixed_size: 0
    .sgpr_count:     22
    .sgpr_spill_count: 0
    .symbol:         _ZN4vllm15rms_norm_kernelIN3c104HalfEEEvPT_PKS3_S6_fii.kd
    .uniform_work_group_size: 1
    .uses_dynamic_stack: false
    .vgpr_count:     30
    .vgpr_spill_count: 0
    .wavefront_size: 64
  - .agpr_count:     0
    .args:
      - .actual_access:  write_only
        .address_space:  global
        .offset:         0
        .size:           8
        .value_kind:     global_buffer
      - .actual_access:  read_only
        .address_space:  global
        .offset:         8
        .size:           8
        .value_kind:     global_buffer
      - .actual_access:  read_only
        .address_space:  global
        .offset:         16
        .size:           8
        .value_kind:     global_buffer
      - .offset:         24
        .size:           4
        .value_kind:     by_value
      - .offset:         28
        .size:           4
        .value_kind:     by_value
      - .offset:         32
        .size:           4
        .value_kind:     by_value
      - .offset:         40
        .size:           4
        .value_kind:     hidden_block_count_x
      - .offset:         44
        .size:           4
        .value_kind:     hidden_block_count_y
      - .offset:         48
        .size:           4
        .value_kind:     hidden_block_count_z
      - .offset:         52
        .size:           2
        .value_kind:     hidden_group_size_x
      - .offset:         54
        .size:           2
        .value_kind:     hidden_group_size_y
      - .offset:         56
        .size:           2
        .value_kind:     hidden_group_size_z
      - .offset:         58
        .size:           2
        .value_kind:     hidden_remainder_x
      - .offset:         60
        .size:           2
        .value_kind:     hidden_remainder_y
      - .offset:         62
        .size:           2
        .value_kind:     hidden_remainder_z
      - .offset:         80
        .size:           8
        .value_kind:     hidden_global_offset_x
      - .offset:         88
        .size:           8
        .value_kind:     hidden_global_offset_y
      - .offset:         96
        .size:           8
        .value_kind:     hidden_global_offset_z
      - .offset:         104
        .size:           2
        .value_kind:     hidden_grid_dims
    .group_segment_fixed_size: 68
    .kernarg_segment_align: 8
    .kernarg_segment_size: 296
    .language:       OpenCL C
    .language_version:
      - 2
      - 0
    .max_flat_workgroup_size: 1024
    .name:           _ZN4vllm15rms_norm_kernelIN3c108BFloat16EEEvPT_PKS3_S6_fii
    .private_segment_fixed_size: 0
    .sgpr_count:     56
    .sgpr_spill_count: 0
    .symbol:         _ZN4vllm15rms_norm_kernelIN3c108BFloat16EEEvPT_PKS3_S6_fii.kd
    .uniform_work_group_size: 1
    .uses_dynamic_stack: false
    .vgpr_count:     68
    .vgpr_spill_count: 0
    .wavefront_size: 64
  - .agpr_count:     0
    .args:
      - .address_space:  global
        .offset:         0
        .size:           8
        .value_kind:     global_buffer
      - .address_space:  global
        .offset:         8
        .size:           8
        .value_kind:     global_buffer
      - .actual_access:  read_only
        .address_space:  global
        .offset:         16
        .size:           8
        .value_kind:     global_buffer
      - .offset:         24
        .size:           4
        .value_kind:     by_value
      - .offset:         28
        .size:           4
        .value_kind:     by_value
      - .offset:         32
        .size:           4
        .value_kind:     by_value
      - .offset:         40
        .size:           4
        .value_kind:     hidden_block_count_x
      - .offset:         44
        .size:           4
        .value_kind:     hidden_block_count_y
      - .offset:         48
        .size:           4
        .value_kind:     hidden_block_count_z
      - .offset:         52
        .size:           2
        .value_kind:     hidden_group_size_x
      - .offset:         54
        .size:           2
        .value_kind:     hidden_group_size_y
      - .offset:         56
        .size:           2
        .value_kind:     hidden_group_size_z
      - .offset:         58
        .size:           2
        .value_kind:     hidden_remainder_x
      - .offset:         60
        .size:           2
        .value_kind:     hidden_remainder_y
      - .offset:         62
        .size:           2
        .value_kind:     hidden_remainder_z
      - .offset:         80
        .size:           8
        .value_kind:     hidden_global_offset_x
      - .offset:         88
        .size:           8
        .value_kind:     hidden_global_offset_y
      - .offset:         96
        .size:           8
        .value_kind:     hidden_global_offset_z
      - .offset:         104
        .size:           2
        .value_kind:     hidden_grid_dims
    .group_segment_fixed_size: 68
    .kernarg_segment_align: 8
    .kernarg_segment_size: 296
    .language:       OpenCL C
    .language_version:
      - 2
      - 0
    .max_flat_workgroup_size: 1024
    .name:           _ZN4vllm25fused_add_rms_norm_kernelIfLi8EEENSt9enable_ifIXooeqT0_Li0Entsr12_typeConvertIT_EE6existsEvE4typeEPS2_S5_PKS2_fii
    .private_segment_fixed_size: 0
    .sgpr_count:     21
    .sgpr_spill_count: 0
    .symbol:         _ZN4vllm25fused_add_rms_norm_kernelIfLi8EEENSt9enable_ifIXooeqT0_Li0Entsr12_typeConvertIT_EE6existsEvE4typeEPS2_S5_PKS2_fii.kd
    .uniform_work_group_size: 1
    .uses_dynamic_stack: false
    .vgpr_count:     16
    .vgpr_spill_count: 0
    .wavefront_size: 64
  - .agpr_count:     0
    .args:
      - .address_space:  global
        .offset:         0
        .size:           8
        .value_kind:     global_buffer
      - .address_space:  global
        .offset:         8
        .size:           8
        .value_kind:     global_buffer
      - .actual_access:  read_only
        .address_space:  global
        .offset:         16
        .size:           8
        .value_kind:     global_buffer
      - .offset:         24
        .size:           4
        .value_kind:     by_value
      - .offset:         28
        .size:           4
        .value_kind:     by_value
      - .offset:         32
        .size:           4
        .value_kind:     by_value
      - .offset:         40
        .size:           4
        .value_kind:     hidden_block_count_x
      - .offset:         44
        .size:           4
        .value_kind:     hidden_block_count_y
      - .offset:         48
        .size:           4
        .value_kind:     hidden_block_count_z
      - .offset:         52
        .size:           2
        .value_kind:     hidden_group_size_x
      - .offset:         54
        .size:           2
        .value_kind:     hidden_group_size_y
      - .offset:         56
        .size:           2
        .value_kind:     hidden_group_size_z
      - .offset:         58
        .size:           2
        .value_kind:     hidden_remainder_x
      - .offset:         60
        .size:           2
        .value_kind:     hidden_remainder_y
      - .offset:         62
        .size:           2
        .value_kind:     hidden_remainder_z
      - .offset:         80
        .size:           8
        .value_kind:     hidden_global_offset_x
      - .offset:         88
        .size:           8
        .value_kind:     hidden_global_offset_y
      - .offset:         96
        .size:           8
        .value_kind:     hidden_global_offset_z
      - .offset:         104
        .size:           2
        .value_kind:     hidden_grid_dims
    .group_segment_fixed_size: 68
    .kernarg_segment_align: 8
    .kernarg_segment_size: 296
    .language:       OpenCL C
    .language_version:
      - 2
      - 0
    .max_flat_workgroup_size: 1024
    .name:           _ZN4vllm25fused_add_rms_norm_kernelIN3c104HalfELi8EEENSt9enable_ifIXooeqT0_Li0Entsr12_typeConvertIT_EE6existsEvE4typeEPS4_S7_PKS4_fii
    .private_segment_fixed_size: 0
    .sgpr_count:     21
    .sgpr_spill_count: 0
    .symbol:         _ZN4vllm25fused_add_rms_norm_kernelIN3c104HalfELi8EEENSt9enable_ifIXooeqT0_Li0Entsr12_typeConvertIT_EE6existsEvE4typeEPS4_S7_PKS4_fii.kd
    .uniform_work_group_size: 1
    .uses_dynamic_stack: false
    .vgpr_count:     16
    .vgpr_spill_count: 0
    .wavefront_size: 64
  - .agpr_count:     0
    .args:
      - .address_space:  global
        .offset:         0
        .size:           8
        .value_kind:     global_buffer
      - .address_space:  global
        .offset:         8
        .size:           8
        .value_kind:     global_buffer
      - .actual_access:  read_only
        .address_space:  global
        .offset:         16
        .size:           8
        .value_kind:     global_buffer
      - .offset:         24
        .size:           4
        .value_kind:     by_value
      - .offset:         28
        .size:           4
        .value_kind:     by_value
      - .offset:         32
        .size:           4
        .value_kind:     by_value
      - .offset:         40
        .size:           4
        .value_kind:     hidden_block_count_x
      - .offset:         44
        .size:           4
        .value_kind:     hidden_block_count_y
      - .offset:         48
        .size:           4
        .value_kind:     hidden_block_count_z
      - .offset:         52
        .size:           2
        .value_kind:     hidden_group_size_x
      - .offset:         54
        .size:           2
        .value_kind:     hidden_group_size_y
      - .offset:         56
        .size:           2
        .value_kind:     hidden_group_size_z
      - .offset:         58
        .size:           2
        .value_kind:     hidden_remainder_x
      - .offset:         60
        .size:           2
        .value_kind:     hidden_remainder_y
      - .offset:         62
        .size:           2
        .value_kind:     hidden_remainder_z
      - .offset:         80
        .size:           8
        .value_kind:     hidden_global_offset_x
      - .offset:         88
        .size:           8
        .value_kind:     hidden_global_offset_y
      - .offset:         96
        .size:           8
        .value_kind:     hidden_global_offset_z
      - .offset:         104
        .size:           2
        .value_kind:     hidden_grid_dims
    .group_segment_fixed_size: 68
    .kernarg_segment_align: 8
    .kernarg_segment_size: 296
    .language:       OpenCL C
    .language_version:
      - 2
      - 0
    .max_flat_workgroup_size: 1024
    .name:           _ZN4vllm25fused_add_rms_norm_kernelIN3c108BFloat16ELi8EEENSt9enable_ifIXooeqT0_Li0Entsr12_typeConvertIT_EE6existsEvE4typeEPS4_S7_PKS4_fii
    .private_segment_fixed_size: 0
    .sgpr_count:     22
    .sgpr_spill_count: 0
    .symbol:         _ZN4vllm25fused_add_rms_norm_kernelIN3c108BFloat16ELi8EEENSt9enable_ifIXooeqT0_Li0Entsr12_typeConvertIT_EE6existsEvE4typeEPS4_S7_PKS4_fii.kd
    .uniform_work_group_size: 1
    .uses_dynamic_stack: false
    .vgpr_count:     16
    .vgpr_spill_count: 0
    .wavefront_size: 64
  - .agpr_count:     0
    .args:
      - .address_space:  global
        .offset:         0
        .size:           8
        .value_kind:     global_buffer
      - .address_space:  global
        .offset:         8
        .size:           8
        .value_kind:     global_buffer
      - .actual_access:  read_only
        .address_space:  global
        .offset:         16
        .size:           8
        .value_kind:     global_buffer
      - .offset:         24
        .size:           4
        .value_kind:     by_value
      - .offset:         28
        .size:           4
        .value_kind:     by_value
      - .offset:         32
        .size:           4
        .value_kind:     by_value
      - .offset:         40
        .size:           4
        .value_kind:     hidden_block_count_x
      - .offset:         44
        .size:           4
        .value_kind:     hidden_block_count_y
      - .offset:         48
        .size:           4
        .value_kind:     hidden_block_count_z
      - .offset:         52
        .size:           2
        .value_kind:     hidden_group_size_x
      - .offset:         54
        .size:           2
        .value_kind:     hidden_group_size_y
      - .offset:         56
        .size:           2
        .value_kind:     hidden_group_size_z
      - .offset:         58
        .size:           2
        .value_kind:     hidden_remainder_x
      - .offset:         60
        .size:           2
        .value_kind:     hidden_remainder_y
      - .offset:         62
        .size:           2
        .value_kind:     hidden_remainder_z
      - .offset:         80
        .size:           8
        .value_kind:     hidden_global_offset_x
      - .offset:         88
        .size:           8
        .value_kind:     hidden_global_offset_y
      - .offset:         96
        .size:           8
        .value_kind:     hidden_global_offset_z
      - .offset:         104
        .size:           2
        .value_kind:     hidden_grid_dims
    .group_segment_fixed_size: 68
    .kernarg_segment_align: 8
    .kernarg_segment_size: 296
    .language:       OpenCL C
    .language_version:
      - 2
      - 0
    .max_flat_workgroup_size: 1024
    .name:           _ZN4vllm25fused_add_rms_norm_kernelIfLi0EEENSt9enable_ifIXooeqT0_Li0Entsr12_typeConvertIT_EE6existsEvE4typeEPS2_S5_PKS2_fii
    .private_segment_fixed_size: 0
    .sgpr_count:     21
    .sgpr_spill_count: 0
    .symbol:         _ZN4vllm25fused_add_rms_norm_kernelIfLi0EEENSt9enable_ifIXooeqT0_Li0Entsr12_typeConvertIT_EE6existsEvE4typeEPS2_S5_PKS2_fii.kd
    .uniform_work_group_size: 1
    .uses_dynamic_stack: false
    .vgpr_count:     16
    .vgpr_spill_count: 0
    .wavefront_size: 64
  - .agpr_count:     0
    .args:
      - .address_space:  global
        .offset:         0
        .size:           8
        .value_kind:     global_buffer
      - .address_space:  global
        .offset:         8
        .size:           8
        .value_kind:     global_buffer
      - .actual_access:  read_only
        .address_space:  global
        .offset:         16
        .size:           8
        .value_kind:     global_buffer
      - .offset:         24
        .size:           4
        .value_kind:     by_value
      - .offset:         28
        .size:           4
        .value_kind:     by_value
      - .offset:         32
        .size:           4
        .value_kind:     by_value
      - .offset:         40
        .size:           4
        .value_kind:     hidden_block_count_x
      - .offset:         44
        .size:           4
        .value_kind:     hidden_block_count_y
      - .offset:         48
        .size:           4
        .value_kind:     hidden_block_count_z
      - .offset:         52
        .size:           2
        .value_kind:     hidden_group_size_x
      - .offset:         54
        .size:           2
        .value_kind:     hidden_group_size_y
      - .offset:         56
        .size:           2
        .value_kind:     hidden_group_size_z
      - .offset:         58
        .size:           2
        .value_kind:     hidden_remainder_x
      - .offset:         60
        .size:           2
        .value_kind:     hidden_remainder_y
      - .offset:         62
        .size:           2
        .value_kind:     hidden_remainder_z
      - .offset:         80
        .size:           8
        .value_kind:     hidden_global_offset_x
      - .offset:         88
        .size:           8
        .value_kind:     hidden_global_offset_y
      - .offset:         96
        .size:           8
        .value_kind:     hidden_global_offset_z
      - .offset:         104
        .size:           2
        .value_kind:     hidden_grid_dims
    .group_segment_fixed_size: 68
    .kernarg_segment_align: 8
    .kernarg_segment_size: 296
    .language:       OpenCL C
    .language_version:
      - 2
      - 0
    .max_flat_workgroup_size: 1024
    .name:           _ZN4vllm25fused_add_rms_norm_kernelIN3c104HalfELi0EEENSt9enable_ifIXooeqT0_Li0Entsr12_typeConvertIT_EE6existsEvE4typeEPS4_S7_PKS4_fii
    .private_segment_fixed_size: 0
    .sgpr_count:     21
    .sgpr_spill_count: 0
    .symbol:         _ZN4vllm25fused_add_rms_norm_kernelIN3c104HalfELi0EEENSt9enable_ifIXooeqT0_Li0Entsr12_typeConvertIT_EE6existsEvE4typeEPS4_S7_PKS4_fii.kd
    .uniform_work_group_size: 1
    .uses_dynamic_stack: false
    .vgpr_count:     16
    .vgpr_spill_count: 0
    .wavefront_size: 64
  - .agpr_count:     0
    .args:
      - .address_space:  global
        .offset:         0
        .size:           8
        .value_kind:     global_buffer
      - .address_space:  global
        .offset:         8
        .size:           8
        .value_kind:     global_buffer
      - .actual_access:  read_only
        .address_space:  global
        .offset:         16
        .size:           8
        .value_kind:     global_buffer
      - .offset:         24
        .size:           4
        .value_kind:     by_value
      - .offset:         28
        .size:           4
        .value_kind:     by_value
      - .offset:         32
        .size:           4
        .value_kind:     by_value
      - .offset:         40
        .size:           4
        .value_kind:     hidden_block_count_x
      - .offset:         44
        .size:           4
        .value_kind:     hidden_block_count_y
      - .offset:         48
        .size:           4
        .value_kind:     hidden_block_count_z
      - .offset:         52
        .size:           2
        .value_kind:     hidden_group_size_x
      - .offset:         54
        .size:           2
        .value_kind:     hidden_group_size_y
      - .offset:         56
        .size:           2
        .value_kind:     hidden_group_size_z
      - .offset:         58
        .size:           2
        .value_kind:     hidden_remainder_x
      - .offset:         60
        .size:           2
        .value_kind:     hidden_remainder_y
      - .offset:         62
        .size:           2
        .value_kind:     hidden_remainder_z
      - .offset:         80
        .size:           8
        .value_kind:     hidden_global_offset_x
      - .offset:         88
        .size:           8
        .value_kind:     hidden_global_offset_y
      - .offset:         96
        .size:           8
        .value_kind:     hidden_global_offset_z
      - .offset:         104
        .size:           2
        .value_kind:     hidden_grid_dims
    .group_segment_fixed_size: 68
    .kernarg_segment_align: 8
    .kernarg_segment_size: 296
    .language:       OpenCL C
    .language_version:
      - 2
      - 0
    .max_flat_workgroup_size: 1024
    .name:           _ZN4vllm25fused_add_rms_norm_kernelIN3c108BFloat16ELi0EEENSt9enable_ifIXooeqT0_Li0Entsr12_typeConvertIT_EE6existsEvE4typeEPS4_S7_PKS4_fii
    .private_segment_fixed_size: 0
    .sgpr_count:     22
    .sgpr_spill_count: 0
    .symbol:         _ZN4vllm25fused_add_rms_norm_kernelIN3c108BFloat16ELi0EEENSt9enable_ifIXooeqT0_Li0Entsr12_typeConvertIT_EE6existsEvE4typeEPS4_S7_PKS4_fii.kd
    .uniform_work_group_size: 1
    .uses_dynamic_stack: false
    .vgpr_count:     16
    .vgpr_spill_count: 0
    .wavefront_size: 64
amdhsa.target:   amdgcn-amd-amdhsa--gfx90a
amdhsa.version:
  - 1
  - 2
...

	.end_amdgpu_metadata
